;; amdgpu-corpus repo=ROCm/rocBLAS kind=compiled arch=gfx906 opt=O3
	.amdgcn_target "amdgcn-amd-amdhsa--gfx906"
	.amdhsa_code_object_version 6
	.section	.text._ZL19rocblas_tpsv_kernelILb1ELi512EPKfPfEv18rocblas_operation_bbiT1_llT2_lll,"axG",@progbits,_ZL19rocblas_tpsv_kernelILb1ELi512EPKfPfEv18rocblas_operation_bbiT1_llT2_lll,comdat
	.globl	_ZL19rocblas_tpsv_kernelILb1ELi512EPKfPfEv18rocblas_operation_bbiT1_llT2_lll ; -- Begin function _ZL19rocblas_tpsv_kernelILb1ELi512EPKfPfEv18rocblas_operation_bbiT1_llT2_lll
	.p2align	8
	.type	_ZL19rocblas_tpsv_kernelILb1ELi512EPKfPfEv18rocblas_operation_bbiT1_llT2_lll,@function
_ZL19rocblas_tpsv_kernelILb1ELi512EPKfPfEv18rocblas_operation_bbiT1_llT2_lll: ; @_ZL19rocblas_tpsv_kernelILb1ELi512EPKfPfEv18rocblas_operation_bbiT1_llT2_lll
; %bb.0:
	s_load_dwordx2 s[26:27], s[4:5], 0x0
	s_load_dwordx2 s[16:17], s[4:5], 0x4
	;; [unrolled: 1-line block ×3, first 2 shown]
	s_load_dwordx4 s[0:3], s[4:5], 0x18
	s_load_dwordx2 s[28:29], s[4:5], 0x28
	s_waitcnt lgkmcnt(0)
	s_bitcmp1_b32 s27, 0
	s_cselect_b64 s[8:9], -1, 0
	s_xor_b64 s[22:23], s[8:9], -1
	s_bitcmp1_b32 s16, 8
	s_load_dwordx4 s[8:11], s[4:5], 0x30
	s_load_dwordx2 s[30:31], s[4:5], 0x40
	s_mul_i32 s3, s3, s6
	s_mul_hi_u32 s4, s2, s6
	s_cselect_b64 s[12:13], -1, 0
	s_add_i32 s3, s4, s3
	s_mul_i32 s2, s2, s6
	s_lshl_b64 s[20:21], s[2:3], 2
	s_add_u32 s2, s18, s20
	s_addc_u32 s3, s19, s21
	s_lshl_b64 s[24:25], s[0:1], 2
	s_add_u32 s14, s2, s24
	s_waitcnt lgkmcnt(0)
	s_mul_i32 s0, s31, s6
	s_mul_hi_u32 s1, s30, s6
	s_addc_u32 s15, s3, s25
	s_add_i32 s1, s1, s0
	s_mul_i32 s0, s30, s6
	s_lshl_b64 s[0:1], s[0:1], 2
	s_add_u32 s2, s28, s0
	s_addc_u32 s3, s29, s1
	s_lshl_b64 s[0:1], s[8:9], 2
	s_add_u32 s33, s2, s0
	s_addc_u32 s54, s3, s1
	s_cmp_gt_i32 s17, 0
	s_cselect_b64 s[6:7], -1, 0
	s_cmpk_lg_i32 s26, 0x6f
	s_mov_b64 s[0:1], -1
	s_cbranch_scc0 .LBB0_93
; %bb.1:
	s_and_b64 vcc, exec, s[22:23]
	s_cbranch_vccz .LBB0_44
; %bb.2:
	s_andn2_b64 vcc, exec, s[6:7]
	s_cbranch_vccnz .LBB0_43
; %bb.3:
	s_lshl_b32 s2, s17, 1
	s_add_i32 s28, s17, 0xfffffe00
	s_or_b32 s16, s2, 1
	s_add_u32 s3, s20, s24
	v_lshlrev_b32_e32 v1, 2, v0
	s_addc_u32 s4, s21, s25
	v_or_b32_e32 v5, 0x1800, v1
	v_mov_b32_e32 v2, s4
	v_sub_co_u32_e32 v1, vcc, s3, v1
	v_subbrev_co_u32_e32 v2, vcc, 0, v2, vcc
	v_mov_b32_e32 v3, s19
	v_add_co_u32_e32 v1, vcc, s18, v1
	v_addc_co_u32_e32 v2, vcc, v3, v2, vcc
	s_movk_i32 s0, 0x7f8
	v_add_co_u32_e32 v6, vcc, s0, v1
	s_ashr_i32 s1, s17, 31
	s_mov_b32 s0, s17
	s_lshl_b64 s[0:1], s[0:1], 2
	s_add_u32 s0, s3, s0
	s_addc_u32 s1, s4, s1
	s_add_u32 s0, s18, s0
	v_sub_u32_e32 v1, s17, v0
	s_addc_u32 s1, s19, s1
	v_add_u32_e32 v8, 0x201, v1
	v_add_u32_e32 v1, s17, v0
	s_add_u32 s4, s0, 0xfffff800
	v_addc_co_u32_e32 v7, vcc, 0, v2, vcc
	v_add_u32_e32 v9, 0xfffffe00, v1
	v_add_u32_e32 v10, 0xfffffe01, v0
	s_addc_u32 s5, s1, -1
	v_add_u32_e32 v11, 0xfffffc00, v1
	s_ashr_i32 s36, s2, 31
	v_mov_b32_e32 v12, s15
	s_movk_i32 s37, 0x400
	s_movk_i32 s38, 0x401
	;; [unrolled: 1-line block ×5, first 2 shown]
	s_branch .LBB0_5
.LBB0_4:                                ;   in Loop: Header=BB0_5 Depth=1
	s_or_b64 exec, exec, s[8:9]
	s_add_u32 s4, s4, 0xfffff800
	v_add_u32_e32 v8, 0x200, v8
	v_add_u32_e32 v9, 0xfffffe00, v9
	s_addc_u32 s5, s5, -1
	v_add_u32_e32 v11, 0xfffffe00, v11
	s_andn2_b64 vcc, exec, s[2:3]
	s_mov_b32 s28, s42
	s_waitcnt vmcnt(0)
	s_barrier
	s_cbranch_vccz .LBB0_43
.LBB0_5:                                ; =>This Loop Header: Depth=1
                                        ;     Child Loop BB0_9 Depth 2
                                        ;     Child Loop BB0_21 Depth 2
                                        ;       Child Loop BB0_24 Depth 3
	v_add_u32_e32 v13, s28, v0
	v_cmp_gt_i32_e32 vcc, 0, v13
	v_cmp_lt_i32_e64 s[0:1], -1, v13
	s_and_saveexec_b64 s[8:9], s[0:1]
	s_cbranch_execz .LBB0_7
; %bb.6:                                ;   in Loop: Header=BB0_5 Depth=1
	v_mad_u64_u32 v[1:2], s[2:3], s10, v13, 0
	v_mad_u64_u32 v[2:3], s[2:3], s11, v13, v[2:3]
	v_mov_b32_e32 v3, s54
	v_lshlrev_b64 v[1:2], 2, v[1:2]
	v_add_co_u32_e64 v1, s[2:3], s33, v1
	v_addc_co_u32_e64 v2, s[2:3], v3, v2, s[2:3]
	global_load_dword v1, v[1:2], off
	s_waitcnt vmcnt(0)
	ds_write_b32 v5, v1
.LBB0_7:                                ;   in Loop: Header=BB0_5 Depth=1
	s_or_b64 exec, exec, s[8:9]
	v_mad_u64_u32 v[1:2], s[2:3], v8, v9, 0
	v_ashrrev_i32_e32 v3, 31, v8
	v_sub_u32_e32 v14, s16, v13
	v_mad_u64_u32 v[2:3], s[2:3], v3, v9, v[2:3]
	v_mad_u64_u32 v[3:4], s[2:3], v14, v13, 0
	v_lshlrev_b64 v[1:2], 1, v[1:2]
	v_ashrrev_i32_e32 v14, 31, v14
	v_and_b32_e32 v1, -4, v1
	v_add_co_u32_e64 v1, s[2:3], v6, v1
	v_addc_co_u32_e64 v2, s[2:3], v7, v2, s[2:3]
	v_mad_u64_u32 v[14:15], s[2:3], v14, v13, v[4:5]
	s_not_b32 s2, s28
	s_movk_i32 s29, 0x1ff
	v_mov_b32_e32 v4, v14
	v_lshlrev_b64 v[3:4], 1, v[3:4]
	v_max_i32_e32 v14, s2, v0
	v_and_b32_e32 v3, -4, v3
	v_add_co_u32_e64 v3, s[2:3], s14, v3
	v_addc_co_u32_e64 v4, s[2:3], v12, v4, s[2:3]
	s_or_b64 s[2:3], vcc, s[12:13]
	s_movk_i32 s30, 0x1ff8
	s_xor_b64 s[2:3], s[2:3], -1
	s_xor_b64 s[8:9], vcc, -1
	v_mov_b32_e32 v15, v10
	s_waitcnt lgkmcnt(0)
	s_barrier
	s_branch .LBB0_9
.LBB0_8:                                ;   in Loop: Header=BB0_9 Depth=2
	s_or_b64 exec, exec, s[26:27]
	s_add_i32 s29, s29, -2
	v_add_co_u32_e32 v1, vcc, -8, v1
	s_add_i32 s30, s30, -8
	v_addc_co_u32_e32 v2, vcc, -1, v2, vcc
	s_cmp_eq_u32 s31, 0
	v_add_u32_e32 v15, 2, v15
	s_cbranch_scc1 .LBB0_17
.LBB0_9:                                ;   Parent Loop BB0_5 Depth=1
                                        ; =>  This Inner Loop Header: Depth=2
	v_cmp_eq_u32_e32 vcc, 0, v15
	s_and_b64 s[34:35], vcc, s[2:3]
	s_and_saveexec_b64 s[26:27], s[34:35]
	s_cbranch_execz .LBB0_11
; %bb.10:                               ;   in Loop: Header=BB0_9 Depth=2
	global_load_dword v16, v[3:4], off
	ds_read_b32 v17, v5
	s_waitcnt vmcnt(0) lgkmcnt(0)
	v_div_scale_f32 v18, s[34:35], v16, v16, v17
	v_div_scale_f32 v19, vcc, v17, v16, v17
	v_rcp_f32_e32 v20, v18
	v_fma_f32 v21, -v18, v20, 1.0
	v_fmac_f32_e32 v20, v21, v20
	v_mul_f32_e32 v21, v19, v20
	v_fma_f32 v22, -v18, v21, v19
	v_fmac_f32_e32 v21, v22, v20
	v_fma_f32 v18, -v18, v21, v19
	v_div_fmas_f32 v18, v18, v20, v21
	v_div_fixup_f32 v16, v18, v16, v17
	ds_write_b32 v5, v16
.LBB0_11:                               ;   in Loop: Header=BB0_9 Depth=2
	s_or_b64 exec, exec, s[26:27]
	v_cmp_gt_u32_e32 vcc, s29, v14
	s_and_b64 s[34:35], s[8:9], vcc
	s_waitcnt lgkmcnt(0)
	s_barrier
	s_and_saveexec_b64 s[26:27], s[34:35]
	s_cbranch_execz .LBB0_13
; %bb.12:                               ;   in Loop: Header=BB0_9 Depth=2
	global_load_dword v16, v[1:2], off offset:4
	v_mov_b32_e32 v17, s30
	ds_read_b32 v17, v17 offset:4
	ds_read_b32 v18, v5
	s_waitcnt vmcnt(0) lgkmcnt(0)
	v_fma_f32 v16, -v16, v17, v18
	ds_write_b32 v5, v16
.LBB0_13:                               ;   in Loop: Header=BB0_9 Depth=2
	s_or_b64 exec, exec, s[26:27]
	s_add_i32 s31, s29, -1
	v_cmp_eq_u32_e32 vcc, s31, v0
	s_and_b64 s[34:35], vcc, s[2:3]
	s_and_saveexec_b64 s[26:27], s[34:35]
	s_cbranch_execz .LBB0_15
; %bb.14:                               ;   in Loop: Header=BB0_9 Depth=2
	global_load_dword v16, v[3:4], off
	ds_read_b32 v17, v5
	s_waitcnt vmcnt(0) lgkmcnt(0)
	v_div_scale_f32 v18, s[34:35], v16, v16, v17
	v_div_scale_f32 v19, vcc, v17, v16, v17
	v_rcp_f32_e32 v20, v18
	v_fma_f32 v21, -v18, v20, 1.0
	v_fmac_f32_e32 v20, v21, v20
	v_mul_f32_e32 v21, v19, v20
	v_fma_f32 v22, -v18, v21, v19
	v_fmac_f32_e32 v21, v22, v20
	v_fma_f32 v18, -v18, v21, v19
	v_div_fmas_f32 v18, v18, v20, v21
	v_div_fixup_f32 v16, v18, v16, v17
	ds_write_b32 v5, v16
.LBB0_15:                               ;   in Loop: Header=BB0_9 Depth=2
	s_or_b64 exec, exec, s[26:27]
	v_cmp_gt_u32_e32 vcc, s31, v14
	s_and_b64 s[34:35], s[8:9], vcc
	s_waitcnt lgkmcnt(0)
	s_barrier
	s_and_saveexec_b64 s[26:27], s[34:35]
	s_cbranch_execz .LBB0_8
; %bb.16:                               ;   in Loop: Header=BB0_9 Depth=2
	global_load_dword v16, v[1:2], off
	v_mov_b32_e32 v17, s30
	ds_read_b32 v17, v17
	ds_read_b32 v18, v5
	s_waitcnt vmcnt(0) lgkmcnt(0)
	v_fma_f32 v16, -v16, v17, v18
	ds_write_b32 v5, v16
	s_branch .LBB0_8
.LBB0_17:                               ;   in Loop: Header=BB0_5 Depth=1
	s_add_i32 s42, s28, 0xfffffe00
	s_cmp_lt_i32 s28, 1
	s_cselect_b64 s[2:3], -1, 0
	s_and_b64 vcc, exec, s[2:3]
	s_waitcnt lgkmcnt(0)
	s_barrier
	s_cbranch_vccnz .LBB0_41
; %bb.18:                               ;   in Loop: Header=BB0_5 Depth=1
	v_mad_i64_i32 v[1:2], s[8:9], v11, -4, s[4:5]
	v_ashrrev_i32_e32 v3, 31, v11
	v_mov_b32_e32 v4, s36
	v_sub_co_u32_e32 v14, vcc, s16, v11
	v_subb_co_u32_e32 v15, vcc, v4, v3, vcc
	s_mov_b64 s[8:9], 0
	v_mov_b32_e32 v16, v11
	v_mov_b32_e32 v17, v0
	s_mov_b32 s43, s42
                                        ; implicit-def: $sgpr26_sgpr27
	s_branch .LBB0_21
.LBB0_19:                               ;   in Loop: Header=BB0_21 Depth=2
	v_mad_u64_u32 v[3:4], s[30:31], s10, v19, 0
	s_add_i32 s34, s43, 0xfffffe00
	s_cmp_lt_i32 s43, 1
	v_mad_u64_u32 v[19:20], s[30:31], s11, v19, v[4:5]
	v_mov_b32_e32 v20, s54
	s_cselect_b64 s[30:31], -1, 0
	v_mov_b32_e32 v4, v19
	v_lshlrev_b64 v[3:4], 2, v[3:4]
	s_andn2_b64 s[26:27], s[26:27], exec
	v_add_co_u32_e32 v3, vcc, s33, v3
	v_addc_co_u32_e32 v4, vcc, v20, v4, vcc
	global_load_dword v19, v[3:4], off
	v_add_co_u32_e32 v1, vcc, s41, v1
	v_addc_co_u32_e32 v2, vcc, 0, v2, vcc
	v_add_co_u32_e32 v14, vcc, 0x200, v14
	s_and_b64 s[30:31], s[30:31], exec
	v_add_u32_e32 v17, 0xfffffe00, v17
	v_add_u32_e32 v16, 0xfffffe00, v16
	v_addc_co_u32_e32 v15, vcc, 0, v15, vcc
	s_or_b64 s[26:27], s[26:27], s[30:31]
	s_mov_b32 s43, s34
	s_waitcnt vmcnt(0)
	v_sub_f32_e32 v18, v19, v18
	global_store_dword v[3:4], v18, off
.LBB0_20:                               ;   in Loop: Header=BB0_21 Depth=2
	s_or_b64 exec, exec, s[28:29]
	s_and_b64 s[28:29], exec, s[26:27]
	s_or_b64 s[8:9], s[28:29], s[8:9]
	s_andn2_b64 exec, exec, s[8:9]
	s_cbranch_execz .LBB0_40
.LBB0_21:                               ;   Parent Loop BB0_5 Depth=1
                                        ; =>  This Loop Header: Depth=2
                                        ;       Child Loop BB0_24 Depth 3
	v_add_u32_e32 v19, s43, v0
	v_cmp_lt_i32_e32 vcc, -1, v19
	s_or_b64 s[26:27], s[26:27], exec
	s_and_saveexec_b64 s[28:29], vcc
	s_cbranch_execz .LBB0_20
; %bb.22:                               ;   in Loop: Header=BB0_21 Depth=2
	v_mad_u64_u32 v[3:4], s[30:31], v14, v16, 0
	v_mov_b32_e32 v18, 0
	s_movk_i32 s44, 0x1800
	v_mad_u64_u32 v[20:21], s[30:31], v15, v16, v[4:5]
	s_movk_i32 s45, 0x200
	v_mov_b32_e32 v4, v20
	v_lshlrev_b64 v[3:4], 1, v[3:4]
	v_and_b32_e32 v3, -4, v3
	v_add_co_u32_e32 v3, vcc, v1, v3
	v_addc_co_u32_e32 v4, vcc, v2, v4, vcc
	s_branch .LBB0_24
.LBB0_23:                               ;   in Loop: Header=BB0_24 Depth=3
	s_or_b64 exec, exec, s[30:31]
	s_waitcnt lgkmcnt(0)
	v_add_f32_e32 v18, v18, v20
	v_add_f32_e32 v18, v18, v22
	;; [unrolled: 1-line block ×3, first 2 shown]
	s_add_i32 s44, s44, 16
	s_add_i32 s45, s45, -4
	v_add_co_u32_e32 v3, vcc, 16, v3
	v_add_f32_e32 v18, v18, v21
	s_cmp_eq_u32 s45, 0
	v_addc_co_u32_e32 v4, vcc, 0, v4, vcc
	s_cbranch_scc1 .LBB0_19
.LBB0_24:                               ;   Parent Loop BB0_5 Depth=1
                                        ;     Parent Loop BB0_21 Depth=2
                                        ; =>    This Inner Loop Header: Depth=3
	v_add_u32_e32 v21, s45, v17
	v_cmp_ne_u32_e32 vcc, s37, v21
	s_xor_b64 s[30:31], s[12:13], -1
	s_or_b64 s[34:35], s[30:31], vcc
                                        ; implicit-def: $vgpr20
	s_and_saveexec_b64 s[46:47], s[34:35]
	s_xor_b64 s[34:35], exec, s[46:47]
	s_cbranch_execz .LBB0_26
; %bb.25:                               ;   in Loop: Header=BB0_24 Depth=3
	global_load_dword v20, v[3:4], off
	v_mov_b32_e32 v22, s44
	ds_read_b32 v22, v22
	s_waitcnt vmcnt(0) lgkmcnt(0)
	v_mul_f32_e32 v20, v20, v22
.LBB0_26:                               ;   in Loop: Header=BB0_24 Depth=3
	s_andn2_saveexec_b64 s[34:35], s[34:35]
; %bb.27:                               ;   in Loop: Header=BB0_24 Depth=3
	v_mov_b32_e32 v20, s44
	ds_read_b32 v20, v20
; %bb.28:                               ;   in Loop: Header=BB0_24 Depth=3
	s_or_b64 exec, exec, s[34:35]
	v_cmp_ne_u32_e32 vcc, s38, v21
	s_or_b64 s[34:35], s[30:31], vcc
                                        ; implicit-def: $vgpr22
	s_and_saveexec_b64 s[46:47], s[34:35]
	s_xor_b64 s[34:35], exec, s[46:47]
	s_cbranch_execz .LBB0_30
; %bb.29:                               ;   in Loop: Header=BB0_24 Depth=3
	global_load_dword v22, v[3:4], off offset:4
	v_mov_b32_e32 v23, s44
	ds_read_b32 v23, v23 offset:4
	s_waitcnt vmcnt(0) lgkmcnt(0)
	v_mul_f32_e32 v22, v22, v23
.LBB0_30:                               ;   in Loop: Header=BB0_24 Depth=3
	s_andn2_saveexec_b64 s[34:35], s[34:35]
; %bb.31:                               ;   in Loop: Header=BB0_24 Depth=3
	v_mov_b32_e32 v22, s44
	ds_read_b32 v22, v22 offset:4
; %bb.32:                               ;   in Loop: Header=BB0_24 Depth=3
	s_or_b64 exec, exec, s[34:35]
	v_cmp_ne_u32_e32 vcc, s39, v21
	s_or_b64 s[34:35], s[30:31], vcc
                                        ; implicit-def: $vgpr23
	s_and_saveexec_b64 s[46:47], s[34:35]
	s_xor_b64 s[34:35], exec, s[46:47]
	s_cbranch_execz .LBB0_34
; %bb.33:                               ;   in Loop: Header=BB0_24 Depth=3
	global_load_dword v23, v[3:4], off offset:8
	v_mov_b32_e32 v24, s44
	ds_read_b32 v24, v24 offset:8
	s_waitcnt vmcnt(0) lgkmcnt(0)
	v_mul_f32_e32 v23, v23, v24
.LBB0_34:                               ;   in Loop: Header=BB0_24 Depth=3
	s_andn2_saveexec_b64 s[34:35], s[34:35]
; %bb.35:                               ;   in Loop: Header=BB0_24 Depth=3
	v_mov_b32_e32 v23, s44
	ds_read_b32 v23, v23 offset:8
; %bb.36:                               ;   in Loop: Header=BB0_24 Depth=3
	s_or_b64 exec, exec, s[34:35]
	v_cmp_ne_u32_e32 vcc, s40, v21
	s_or_b64 s[30:31], s[30:31], vcc
                                        ; implicit-def: $vgpr21
	s_and_saveexec_b64 s[34:35], s[30:31]
	s_xor_b64 s[30:31], exec, s[34:35]
	s_cbranch_execz .LBB0_38
; %bb.37:                               ;   in Loop: Header=BB0_24 Depth=3
	global_load_dword v21, v[3:4], off offset:12
	v_mov_b32_e32 v24, s44
	ds_read_b32 v24, v24 offset:12
	s_waitcnt vmcnt(0) lgkmcnt(0)
	v_mul_f32_e32 v21, v21, v24
.LBB0_38:                               ;   in Loop: Header=BB0_24 Depth=3
	s_andn2_saveexec_b64 s[30:31], s[30:31]
	s_cbranch_execz .LBB0_23
; %bb.39:                               ;   in Loop: Header=BB0_24 Depth=3
	v_mov_b32_e32 v21, s44
	ds_read_b32 v21, v21 offset:12
	s_branch .LBB0_23
.LBB0_40:                               ;   in Loop: Header=BB0_5 Depth=1
	s_or_b64 exec, exec, s[8:9]
.LBB0_41:                               ;   in Loop: Header=BB0_5 Depth=1
	s_and_saveexec_b64 s[8:9], s[0:1]
	s_cbranch_execz .LBB0_4
; %bb.42:                               ;   in Loop: Header=BB0_5 Depth=1
	v_mad_u64_u32 v[1:2], s[0:1], s10, v13, 0
	v_mov_b32_e32 v4, s54
	v_mad_u64_u32 v[2:3], s[0:1], s11, v13, v[2:3]
	ds_read_b32 v3, v5
	v_lshlrev_b64 v[1:2], 2, v[1:2]
	v_add_co_u32_e32 v1, vcc, s33, v1
	v_addc_co_u32_e32 v2, vcc, v4, v2, vcc
	s_waitcnt lgkmcnt(0)
	global_store_dword v[1:2], v3, off
	s_branch .LBB0_4
.LBB0_43:
	s_mov_b64 s[0:1], 0
.LBB0_44:
	s_andn2_b64 vcc, exec, s[0:1]
	s_cbranch_vccnz .LBB0_92
; %bb.45:
	s_andn2_b64 vcc, exec, s[6:7]
	s_cbranch_vccnz .LBB0_92
; %bb.46:
	v_mov_b32_e32 v1, 0x800
	v_mov_b32_e32 v2, 0
	v_lshl_or_b32 v13, v0, 2, v1
	v_mov_b32_e32 v1, v2
	v_mad_u64_u32 v[3:4], s[0:1], v0, v0, v[0:1]
	v_lshlrev_b32_e32 v1, 10, v0
	v_add_co_u32_e32 v7, vcc, 0x40200, v1
	v_or_b32_e32 v1, 0x200, v0
	v_mov_b32_e32 v6, v2
	v_addc_co_u32_e64 v8, s[0:1], 0, 0, vcc
	s_mov_b32 s16, 0
	v_add_u32_e32 v14, 0x201, v0
	v_mov_b32_e32 v15, s15
	s_xor_b64 s[8:9], s[12:13], -1
	v_mov_b32_e32 v5, v1
	s_mov_b64 s[26:27], s[14:15]
	s_branch .LBB0_48
.LBB0_47:                               ;   in Loop: Header=BB0_48 Depth=1
	s_or_b64 exec, exec, s[4:5]
	v_add_co_u32_e32 v9, vcc, 0x80000, v7
	v_addc_co_u32_e32 v10, vcc, 0, v8, vcc
	v_add_co_u32_e32 v3, vcc, v3, v7
	v_addc_co_u32_e32 v4, vcc, v4, v8, vcc
	v_add_co_u32_e32 v5, vcc, 0x200, v5
	s_add_u32 s26, s26, 0x800
	v_addc_co_u32_e32 v6, vcc, 0, v6, vcc
	v_mov_b32_e32 v7, v9
	s_addc_u32 s27, s27, 0
	v_add_u32_e32 v14, 0x200, v14
	s_and_b64 vcc, exec, s[2:3]
	v_mov_b32_e32 v8, v10
	s_mov_b32 s16, s36
	s_waitcnt vmcnt(0)
	s_barrier
	s_cbranch_vccnz .LBB0_92
.LBB0_48:                               ; =>This Loop Header: Depth=1
                                        ;     Child Loop BB0_52 Depth 2
                                        ;     Child Loop BB0_66 Depth 2
                                        ;       Child Loop BB0_69 Depth 3
	v_add_u32_e32 v16, s16, v0
	v_cmp_le_i32_e32 vcc, s17, v16
	v_cmp_gt_i32_e64 s[0:1], s17, v16
	s_and_saveexec_b64 s[4:5], s[0:1]
	s_cbranch_execz .LBB0_50
; %bb.49:                               ;   in Loop: Header=BB0_48 Depth=1
	v_mad_u64_u32 v[9:10], s[2:3], s10, v16, 0
	v_mov_b32_e32 v1, v10
	v_mad_u64_u32 v[10:11], s[2:3], s11, v16, v[1:2]
	v_mov_b32_e32 v1, s54
	v_lshlrev_b64 v[9:10], 2, v[9:10]
	v_add_co_u32_e64 v9, s[2:3], s33, v9
	v_addc_co_u32_e64 v10, s[2:3], v1, v10, s[2:3]
	global_load_dword v1, v[9:10], off
	s_waitcnt vmcnt(0)
	ds_write_b32 v13, v1
.LBB0_50:                               ;   in Loop: Header=BB0_48 Depth=1
	s_or_b64 exec, exec, s[4:5]
	v_lshlrev_b64 v[9:10], 1, v[3:4]
	v_mov_b32_e32 v17, s27
	v_and_b32_e32 v1, -4, v9
	v_add_co_u32_e64 v9, s[2:3], s26, v1
	v_or_b32_e32 v1, s16, v0
	v_add_u32_e32 v11, 1, v1
	v_addc_co_u32_e64 v10, s[2:3], v17, v10, s[2:3]
	v_mad_u64_u32 v[11:12], s[2:3], v11, v1, 0
	v_cmp_le_i32_e64 s[2:3], s17, v1
	s_mov_b32 s31, 0
	v_lshlrev_b64 v[11:12], 1, v[11:12]
	s_movk_i32 s30, 0x800
	v_and_b32_e32 v11, -4, v11
	v_add_co_u32_e64 v18, s[4:5], s14, v11
	v_addc_co_u32_e64 v19, s[4:5], v15, v12, s[4:5]
	v_lshlrev_b64 v[11:12], 2, v[1:2]
	s_waitcnt lgkmcnt(0)
	v_add_co_u32_e64 v11, s[4:5], v18, v11
	v_addc_co_u32_e64 v12, s[4:5], v19, v12, s[4:5]
	s_xor_b64 s[4:5], vcc, -1
	s_barrier
	s_branch .LBB0_52
.LBB0_51:                               ;   in Loop: Header=BB0_52 Depth=2
	s_or_b64 exec, exec, s[28:29]
	s_add_i32 s30, s30, 8
	s_add_i32 s31, s34, 1
	v_add_co_u32_e32 v9, vcc, 8, v9
	s_cmpk_eq_i32 s31, 0x200
	v_addc_co_u32_e32 v10, vcc, 0, v10, vcc
	s_cbranch_scc1 .LBB0_62
.LBB0_52:                               ;   Parent Loop BB0_48 Depth=1
                                        ; =>  This Inner Loop Header: Depth=2
	v_cmp_ne_u32_e32 vcc, s31, v0
	s_or_b64 s[28:29], s[12:13], vcc
	s_nor_b64 s[34:35], s[28:29], s[2:3]
	s_and_saveexec_b64 s[28:29], s[34:35]
	s_cbranch_execz .LBB0_54
; %bb.53:                               ;   in Loop: Header=BB0_52 Depth=2
	global_load_dword v1, v[11:12], off
	ds_read_b32 v18, v13
	s_waitcnt vmcnt(0) lgkmcnt(0)
	v_div_scale_f32 v19, s[34:35], v1, v1, v18
	v_div_scale_f32 v20, vcc, v18, v1, v18
	v_rcp_f32_e32 v21, v19
	v_fma_f32 v22, -v19, v21, 1.0
	v_fmac_f32_e32 v21, v22, v21
	v_mul_f32_e32 v22, v20, v21
	v_fma_f32 v23, -v19, v22, v20
	v_fmac_f32_e32 v22, v23, v21
	v_fma_f32 v19, -v19, v22, v20
	v_div_fmas_f32 v19, v19, v21, v22
	v_div_fixup_f32 v1, v19, v1, v18
	ds_write_b32 v13, v1
.LBB0_54:                               ;   in Loop: Header=BB0_52 Depth=2
	s_or_b64 exec, exec, s[28:29]
	v_cmp_lt_u32_e32 vcc, s31, v0
	s_waitcnt lgkmcnt(0)
	s_barrier
	s_and_saveexec_b64 s[28:29], vcc
	s_cbranch_execz .LBB0_57
; %bb.55:                               ;   in Loop: Header=BB0_52 Depth=2
	s_add_i32 s34, s16, s31
	s_cmp_lt_i32 s34, s17
	s_cselect_b64 s[34:35], -1, 0
	s_and_b64 s[34:35], s[4:5], s[34:35]
	s_and_b64 exec, exec, s[34:35]
	s_cbranch_execz .LBB0_57
; %bb.56:                               ;   in Loop: Header=BB0_52 Depth=2
	global_load_dword v1, v[9:10], off
	v_mov_b32_e32 v18, s30
	ds_read_b32 v18, v18
	ds_read_b32 v19, v13
	s_waitcnt vmcnt(0) lgkmcnt(0)
	v_fma_f32 v1, -v1, v18, v19
	ds_write_b32 v13, v1
.LBB0_57:                               ;   in Loop: Header=BB0_52 Depth=2
	s_or_b64 exec, exec, s[28:29]
	s_add_i32 s34, s31, 1
	v_cmp_ne_u32_e32 vcc, s34, v0
	s_or_b64 s[28:29], s[12:13], vcc
	s_nor_b64 s[36:37], s[28:29], s[2:3]
	s_and_saveexec_b64 s[28:29], s[36:37]
	s_cbranch_execz .LBB0_59
; %bb.58:                               ;   in Loop: Header=BB0_52 Depth=2
	global_load_dword v1, v[11:12], off
	ds_read_b32 v18, v13
	s_waitcnt vmcnt(0) lgkmcnt(0)
	v_div_scale_f32 v19, s[36:37], v1, v1, v18
	v_div_scale_f32 v20, vcc, v18, v1, v18
	v_rcp_f32_e32 v21, v19
	v_fma_f32 v22, -v19, v21, 1.0
	v_fmac_f32_e32 v21, v22, v21
	v_mul_f32_e32 v22, v20, v21
	v_fma_f32 v23, -v19, v22, v20
	v_fmac_f32_e32 v22, v23, v21
	v_fma_f32 v19, -v19, v22, v20
	v_div_fmas_f32 v19, v19, v21, v22
	v_div_fixup_f32 v1, v19, v1, v18
	ds_write_b32 v13, v1
.LBB0_59:                               ;   in Loop: Header=BB0_52 Depth=2
	s_or_b64 exec, exec, s[28:29]
	v_cmp_lt_u32_e32 vcc, s34, v0
	s_waitcnt lgkmcnt(0)
	s_barrier
	s_and_saveexec_b64 s[28:29], vcc
	s_cbranch_execz .LBB0_51
; %bb.60:                               ;   in Loop: Header=BB0_52 Depth=2
	s_add_i32 s31, s16, s31
	s_add_i32 s31, s31, 1
	s_cmp_lt_i32 s31, s17
	s_cselect_b64 s[36:37], -1, 0
	s_and_b64 s[36:37], s[4:5], s[36:37]
	s_and_b64 exec, exec, s[36:37]
	s_cbranch_execz .LBB0_51
; %bb.61:                               ;   in Loop: Header=BB0_52 Depth=2
	global_load_dword v1, v[9:10], off offset:4
	v_mov_b32_e32 v18, s30
	ds_read_b32 v18, v18 offset:4
	ds_read_b32 v19, v13
	s_waitcnt vmcnt(0) lgkmcnt(0)
	v_fma_f32 v1, -v1, v18, v19
	ds_write_b32 v13, v1
	s_branch .LBB0_51
.LBB0_62:                               ;   in Loop: Header=BB0_48 Depth=1
	s_add_i32 s36, s16, 0x200
	s_cmp_ge_i32 s36, s17
	s_cselect_b64 s[2:3], -1, 0
	s_and_b64 vcc, exec, s[2:3]
	s_waitcnt lgkmcnt(0)
	s_barrier
	s_cbranch_vccnz .LBB0_90
; %bb.63:                               ;   in Loop: Header=BB0_48 Depth=1
	v_mov_b32_e32 v10, v6
	s_mov_b64 s[4:5], 0
	v_mov_b32_e32 v1, v14
	v_mov_b32_e32 v9, v5
	;; [unrolled: 1-line block ×3, first 2 shown]
	s_mov_b32 s37, s36
                                        ; implicit-def: $sgpr28_sgpr29
	s_branch .LBB0_66
.LBB0_64:                               ;   in Loop: Header=BB0_66 Depth=2
	v_mad_u64_u32 v[11:12], s[34:35], s10, v19, 0
	s_addk_i32 s37, 0x200
	s_cmp_ge_i32 s37, s17
	v_mad_u64_u32 v[21:22], s[34:35], s11, v19, v[12:13]
	v_mov_b32_e32 v19, s54
	s_cselect_b64 s[34:35], -1, 0
	v_mov_b32_e32 v12, v21
	v_lshlrev_b64 v[11:12], 2, v[11:12]
	s_andn2_b64 s[28:29], s[28:29], exec
	v_add_co_u32_e32 v11, vcc, s33, v11
	v_addc_co_u32_e32 v12, vcc, v19, v12, vcc
	global_load_dword v19, v[11:12], off
	v_add_co_u32_e32 v9, vcc, 0x200, v9
	s_and_b64 s[34:35], s[34:35], exec
	v_add_u32_e32 v1, 0x200, v1
	v_addc_co_u32_e32 v10, vcc, 0, v10, vcc
	s_or_b64 s[28:29], s[28:29], s[34:35]
	s_waitcnt vmcnt(0)
	v_sub_f32_e32 v19, v19, v20
	global_store_dword v[11:12], v19, off
.LBB0_65:                               ;   in Loop: Header=BB0_66 Depth=2
	s_or_b64 exec, exec, s[30:31]
	s_and_b64 s[30:31], exec, s[28:29]
	s_or_b64 s[4:5], s[30:31], s[4:5]
	s_andn2_b64 exec, exec, s[4:5]
	s_cbranch_execz .LBB0_89
.LBB0_66:                               ;   Parent Loop BB0_48 Depth=1
                                        ; =>  This Loop Header: Depth=2
                                        ;       Child Loop BB0_69 Depth 3
	v_add_u32_e32 v19, s37, v0
	v_cmp_gt_i32_e32 vcc, s17, v19
	s_or_b64 s[28:29], s[28:29], exec
	s_and_saveexec_b64 s[30:31], vcc
	s_cbranch_execz .LBB0_65
; %bb.67:                               ;   in Loop: Header=BB0_66 Depth=2
	v_mad_u64_u32 v[11:12], s[34:35], v9, v1, 0
	v_add_u32_e32 v22, 0x1fe, v18
	v_add_u32_e32 v23, 0x1ff, v18
	v_mad_u64_u32 v[20:21], s[34:35], v10, v1, v[12:13]
	v_add_u32_e32 v21, 0x1fd, v18
	v_add_u32_e32 v18, 0x200, v18
	v_mov_b32_e32 v12, v20
	v_lshlrev_b64 v[11:12], 1, v[11:12]
	v_mov_b32_e32 v20, 0
	v_and_b32_e32 v11, -4, v11
	v_add_co_u32_e32 v11, vcc, s26, v11
	v_addc_co_u32_e32 v12, vcc, v17, v12, vcc
	s_mov_b32 s38, 0
	s_movk_i32 s39, 0x800
	s_branch .LBB0_69
.LBB0_68:                               ;   in Loop: Header=BB0_69 Depth=3
	s_or_b64 exec, exec, s[34:35]
	s_add_i32 s38, s38, 4
	s_add_i32 s39, s39, 16
	v_add_co_u32_e32 v11, vcc, 16, v11
	s_cmpk_eq_i32 s38, 0x200
	v_addc_co_u32_e32 v12, vcc, 0, v12, vcc
	s_cbranch_scc1 .LBB0_64
.LBB0_69:                               ;   Parent Loop BB0_48 Depth=1
                                        ;     Parent Loop BB0_66 Depth=2
                                        ; =>    This Inner Loop Header: Depth=3
	v_cmp_ne_u32_e32 vcc, s38, v18
	s_add_i32 s40, s16, s38
	s_or_b64 s[34:35], s[8:9], vcc
	s_and_saveexec_b64 s[42:43], s[34:35]
	s_xor_b64 s[34:35], exec, s[42:43]
	s_cbranch_execz .LBB0_72
; %bb.70:                               ;   in Loop: Header=BB0_69 Depth=3
	s_cmp_ge_i32 s40, s17
	s_cbranch_scc1 .LBB0_72
; %bb.71:                               ;   in Loop: Header=BB0_69 Depth=3
	global_load_dword v24, v[11:12], off
	v_mov_b32_e32 v25, s39
	ds_read_b32 v25, v25
	s_waitcnt vmcnt(0) lgkmcnt(0)
	v_fmac_f32_e32 v20, v24, v25
.LBB0_72:                               ;   in Loop: Header=BB0_69 Depth=3
	s_andn2_saveexec_b64 s[34:35], s[34:35]
	s_cbranch_execz .LBB0_74
; %bb.73:                               ;   in Loop: Header=BB0_69 Depth=3
	v_mov_b32_e32 v24, s39
	ds_read_b32 v24, v24
	s_waitcnt lgkmcnt(0)
	v_add_f32_e32 v20, v20, v24
.LBB0_74:                               ;   in Loop: Header=BB0_69 Depth=3
	s_or_b64 exec, exec, s[34:35]
	v_cmp_ne_u32_e32 vcc, s38, v23
	s_or_b64 s[34:35], s[8:9], vcc
	s_and_saveexec_b64 s[42:43], s[34:35]
	s_xor_b64 s[34:35], exec, s[42:43]
	s_cbranch_execz .LBB0_77
; %bb.75:                               ;   in Loop: Header=BB0_69 Depth=3
	s_add_i32 s41, s40, 1
	s_cmp_ge_i32 s41, s17
	s_cbranch_scc1 .LBB0_77
; %bb.76:                               ;   in Loop: Header=BB0_69 Depth=3
	global_load_dword v24, v[11:12], off offset:4
	v_mov_b32_e32 v25, s39
	ds_read_b32 v25, v25 offset:4
	s_waitcnt vmcnt(0) lgkmcnt(0)
	v_fmac_f32_e32 v20, v24, v25
.LBB0_77:                               ;   in Loop: Header=BB0_69 Depth=3
	s_andn2_saveexec_b64 s[34:35], s[34:35]
	s_cbranch_execz .LBB0_79
; %bb.78:                               ;   in Loop: Header=BB0_69 Depth=3
	v_mov_b32_e32 v24, s39
	ds_read_b32 v24, v24 offset:4
	s_waitcnt lgkmcnt(0)
	v_add_f32_e32 v20, v20, v24
.LBB0_79:                               ;   in Loop: Header=BB0_69 Depth=3
	s_or_b64 exec, exec, s[34:35]
	v_cmp_ne_u32_e32 vcc, s38, v22
	s_or_b64 s[34:35], s[8:9], vcc
	s_and_saveexec_b64 s[42:43], s[34:35]
	s_xor_b64 s[34:35], exec, s[42:43]
	s_cbranch_execz .LBB0_82
; %bb.80:                               ;   in Loop: Header=BB0_69 Depth=3
	s_add_i32 s41, s40, 2
	s_cmp_ge_i32 s41, s17
	s_cbranch_scc1 .LBB0_82
; %bb.81:                               ;   in Loop: Header=BB0_69 Depth=3
	global_load_dword v24, v[11:12], off offset:8
	v_mov_b32_e32 v25, s39
	ds_read_b32 v25, v25 offset:8
	s_waitcnt vmcnt(0) lgkmcnt(0)
	v_fmac_f32_e32 v20, v24, v25
.LBB0_82:                               ;   in Loop: Header=BB0_69 Depth=3
	s_andn2_saveexec_b64 s[34:35], s[34:35]
	s_cbranch_execz .LBB0_84
; %bb.83:                               ;   in Loop: Header=BB0_69 Depth=3
	v_mov_b32_e32 v24, s39
	ds_read_b32 v24, v24 offset:8
	s_waitcnt lgkmcnt(0)
	v_add_f32_e32 v20, v20, v24
.LBB0_84:                               ;   in Loop: Header=BB0_69 Depth=3
	s_or_b64 exec, exec, s[34:35]
	v_cmp_ne_u32_e32 vcc, s38, v21
	s_or_b64 s[34:35], s[8:9], vcc
	s_and_saveexec_b64 s[42:43], s[34:35]
	s_xor_b64 s[34:35], exec, s[42:43]
	s_cbranch_execz .LBB0_87
; %bb.85:                               ;   in Loop: Header=BB0_69 Depth=3
	s_add_i32 s40, s40, 3
	s_cmp_ge_i32 s40, s17
	s_cbranch_scc1 .LBB0_87
; %bb.86:                               ;   in Loop: Header=BB0_69 Depth=3
	global_load_dword v24, v[11:12], off offset:12
	v_mov_b32_e32 v25, s39
	ds_read_b32 v25, v25 offset:12
	s_waitcnt vmcnt(0) lgkmcnt(0)
	v_fmac_f32_e32 v20, v24, v25
.LBB0_87:                               ;   in Loop: Header=BB0_69 Depth=3
	s_andn2_saveexec_b64 s[34:35], s[34:35]
	s_cbranch_execz .LBB0_68
; %bb.88:                               ;   in Loop: Header=BB0_69 Depth=3
	v_mov_b32_e32 v24, s39
	ds_read_b32 v24, v24 offset:12
	s_waitcnt lgkmcnt(0)
	v_add_f32_e32 v20, v20, v24
	s_branch .LBB0_68
.LBB0_89:                               ;   in Loop: Header=BB0_48 Depth=1
	s_or_b64 exec, exec, s[4:5]
.LBB0_90:                               ;   in Loop: Header=BB0_48 Depth=1
	s_and_saveexec_b64 s[4:5], s[0:1]
	s_cbranch_execz .LBB0_47
; %bb.91:                               ;   in Loop: Header=BB0_48 Depth=1
	v_mad_u64_u32 v[9:10], s[0:1], s10, v16, 0
	v_mov_b32_e32 v1, v10
	v_mad_u64_u32 v[10:11], s[0:1], s11, v16, v[1:2]
	ds_read_b32 v1, v13
	v_mov_b32_e32 v11, s54
	v_lshlrev_b64 v[9:10], 2, v[9:10]
	v_add_co_u32_e32 v9, vcc, s33, v9
	v_addc_co_u32_e32 v10, vcc, v11, v10, vcc
	s_waitcnt lgkmcnt(0)
	global_store_dword v[9:10], v1, off
	s_branch .LBB0_47
.LBB0_92:
	s_mov_b64 s[0:1], 0
.LBB0_93:
	s_andn2_b64 vcc, exec, s[0:1]
	s_cbranch_vccnz .LBB0_180
; %bb.94:
	s_mov_b64 s[0:1], -1
	s_and_b64 vcc, exec, s[22:23]
	s_cbranch_vccz .LBB0_134
; %bb.95:
	s_andn2_b64 vcc, exec, s[6:7]
	s_cbranch_vccnz .LBB0_133
; %bb.96:
	s_lshl_b32 s8, s17, 1
	s_or_b32 s16, s8, 1
	s_add_u32 s0, s20, s24
	s_addc_u32 s1, s21, s25
	s_add_u32 s55, s18, s0
	s_addc_u32 s4, s19, s1
	s_ashr_i32 s9, s8, 31
	s_lshl_b64 s[0:1], s[8:9], 9
	s_add_u32 s28, s0, 0xfffbfe00
	s_addc_u32 s29, s1, -1
	s_lshl_b64 s[2:3], s[8:9], 1
	s_add_u32 s18, s2, -6
	s_addc_u32 s19, s3, -1
	s_add_u32 s26, s0, 0xfffc0200
	v_lshlrev_b32_e32 v16, 2, v0
	s_addc_u32 s27, s1, -1
	v_mov_b32_e32 v17, s4
	v_add_co_u32_e32 v2, vcc, s55, v16
	s_add_u32 s20, s2, -2
	v_addc_co_u32_e32 v3, vcc, 0, v17, vcc
	s_addc_u32 s21, s3, -1
	v_add_co_u32_e32 v4, vcc, -4, v2
	s_add_u32 s56, s55, -4
	v_mov_b32_e32 v1, 0
	v_addc_co_u32_e32 v5, vcc, -1, v3, vcc
	s_addc_u32 s57, s4, -1
	v_or_b32_e32 v18, 0x200, v0
	s_mov_b64 s[22:23], 0
	v_mov_b32_e32 v19, s15
	s_mov_b64 s[24:25], 0
	s_mov_b64 s[30:31], 0
	s_branch .LBB0_98
.LBB0_97:                               ;   in Loop: Header=BB0_98 Depth=1
	s_or_b64 exec, exec, s[30:31]
	s_add_u32 s0, s28, 0xfff80000
	s_addc_u32 s1, s29, -1
	s_add_u32 s8, s8, s28
	s_addc_u32 s9, s9, s29
	s_add_u32 s18, s18, 0xfffff800
	s_addc_u32 s19, s19, -1
	s_add_u32 s28, s26, 0xfff80000
	s_addc_u32 s29, s27, -1
	s_add_u32 s22, s22, s26
	s_addc_u32 s23, s23, s27
	s_add_u32 s20, s20, 0xfffff800
	s_addc_u32 s21, s21, -1
	s_add_u32 s24, s24, 0xfffffe00
	s_addc_u32 s25, s25, -1
	v_add_u32_e32 v18, 0x200, v18
	s_and_b64 vcc, exec, s[4:5]
	s_mov_b64 s[26:27], s[28:29]
	s_mov_b64 s[30:31], s[2:3]
	;; [unrolled: 1-line block ×3, first 2 shown]
	s_waitcnt vmcnt(0)
	s_barrier
	s_cbranch_vccnz .LBB0_133
.LBB0_98:                               ; =>This Loop Header: Depth=1
                                        ;     Child Loop BB0_102 Depth 2
                                        ;     Child Loop BB0_116 Depth 2
                                        ;       Child Loop BB0_118 Depth 3
	v_add_u32_e32 v20, s30, v0
	v_cmp_le_i32_e64 s[2:3], s17, v20
	v_cmp_gt_i32_e64 s[0:1], s17, v20
	s_and_saveexec_b64 s[4:5], s[0:1]
	s_cbranch_execz .LBB0_100
; %bb.99:                               ;   in Loop: Header=BB0_98 Depth=1
	v_mad_u64_u32 v[6:7], s[34:35], s10, v20, 0
	v_mad_u64_u32 v[7:8], s[34:35], s11, v20, v[7:8]
	v_mov_b32_e32 v8, s54
	v_lshlrev_b64 v[6:7], 2, v[6:7]
	v_add_co_u32_e32 v6, vcc, s33, v6
	v_addc_co_u32_e32 v7, vcc, v8, v7, vcc
	global_load_dword v6, v[6:7], off
	s_waitcnt vmcnt(0)
	ds_write_b32 v16, v6
.LBB0_100:                              ;   in Loop: Header=BB0_98 Depth=1
	s_or_b64 exec, exec, s[4:5]
	v_or_b32_e32 v9, s30, v0
	v_sub_u32_e32 v8, s16, v9
	v_mad_u64_u32 v[6:7], s[4:5], v8, v9, 0
	v_ashrrev_i32_e32 v8, 31, v8
	v_mov_b32_e32 v11, v5
	v_mad_u64_u32 v[7:8], s[4:5], v8, v9, v[7:8]
	v_cmp_le_i32_e64 s[4:5], s17, v9
	v_mov_b32_e32 v9, v3
	v_lshlrev_b64 v[6:7], 1, v[6:7]
	s_mov_b32 s46, 0
	v_and_b32_e32 v6, -4, v6
	v_add_co_u32_e32 v6, vcc, s14, v6
	v_addc_co_u32_e32 v7, vcc, v19, v7, vcc
	s_mov_b64 s[42:43], 0
	s_mov_b64 s[34:35], s[22:23]
	;; [unrolled: 1-line block ×3, first 2 shown]
	v_mov_b32_e32 v8, v2
	s_mov_b64 s[36:37], s[8:9]
	s_mov_b64 s[40:41], s[18:19]
	v_mov_b32_e32 v10, v4
	s_waitcnt lgkmcnt(0)
	s_barrier
	s_branch .LBB0_102
.LBB0_101:                              ;   in Loop: Header=BB0_102 Depth=2
	s_or_b64 exec, exec, s[44:45]
	s_add_i32 s46, s46, 8
	s_add_u32 s44, s40, -8
	s_addc_u32 s45, s41, -1
	s_add_u32 s36, s36, s40
	s_addc_u32 s37, s37, s41
	s_add_u32 s40, s38, -8
	s_addc_u32 s41, s39, -1
	s_add_u32 s34, s34, s38
	v_add_co_u32_e32 v10, vcc, -8, v10
	s_addc_u32 s35, s35, s39
	v_addc_co_u32_e32 v11, vcc, -1, v11, vcc
	s_add_u32 s42, s47, 1
	v_add_co_u32_e32 v8, vcc, -8, v8
	s_addc_u32 s43, s43, 0
	v_addc_co_u32_e32 v9, vcc, -1, v9, vcc
	s_cmpk_eq_i32 s42, 0x200
	s_mov_b64 s[38:39], s[40:41]
	s_mov_b64 s[40:41], s[44:45]
	s_cbranch_scc1 .LBB0_112
.LBB0_102:                              ;   Parent Loop BB0_98 Depth=1
                                        ; =>  This Inner Loop Header: Depth=2
	v_cmp_ne_u32_e32 vcc, s42, v0
	s_or_b64 s[44:45], s[12:13], vcc
	s_nor_b64 s[48:49], s[44:45], s[4:5]
	s_and_saveexec_b64 s[44:45], s[48:49]
	s_cbranch_execz .LBB0_104
; %bb.103:                              ;   in Loop: Header=BB0_102 Depth=2
	global_load_dword v12, v[6:7], off
	ds_read_b32 v13, v16
	s_waitcnt vmcnt(0) lgkmcnt(0)
	v_div_scale_f32 v14, s[48:49], v12, v12, v13
	v_div_scale_f32 v15, vcc, v13, v12, v13
	v_rcp_f32_e32 v21, v14
	v_fma_f32 v22, -v14, v21, 1.0
	v_fmac_f32_e32 v21, v22, v21
	v_mul_f32_e32 v22, v15, v21
	v_fma_f32 v23, -v14, v22, v15
	v_fmac_f32_e32 v22, v23, v21
	v_fma_f32 v14, -v14, v22, v15
	v_div_fmas_f32 v14, v14, v21, v22
	v_div_fixup_f32 v12, v14, v12, v13
	ds_write_b32 v16, v12
.LBB0_104:                              ;   in Loop: Header=BB0_102 Depth=2
	s_or_b64 exec, exec, s[44:45]
	v_cmp_lt_u32_e32 vcc, s42, v0
	s_waitcnt lgkmcnt(0)
	s_barrier
	s_and_saveexec_b64 s[44:45], vcc
	s_cbranch_execz .LBB0_107
; %bb.105:                              ;   in Loop: Header=BB0_102 Depth=2
	s_add_i32 s47, s30, s42
	s_cmp_lt_i32 s47, s17
	s_cselect_b64 s[48:49], -1, 0
	s_xor_b64 s[50:51], s[2:3], -1
	s_and_b64 s[48:49], s[50:51], s[48:49]
	s_and_b64 exec, exec, s[48:49]
	s_cbranch_execz .LBB0_107
; %bb.106:                              ;   in Loop: Header=BB0_102 Depth=2
	s_lshl_b64 s[48:49], s[34:35], 1
	s_and_b32 s47, s48, -4
	v_mov_b32_e32 v13, s49
	v_add_co_u32_e32 v12, vcc, s47, v8
	v_addc_co_u32_e32 v13, vcc, v9, v13, vcc
	global_load_dword v12, v[12:13], off
	v_mov_b32_e32 v13, s46
	ds_read_b32 v13, v13
	ds_read_b32 v14, v16
	s_waitcnt vmcnt(0) lgkmcnt(0)
	v_fma_f32 v12, -v12, v13, v14
	ds_write_b32 v16, v12
.LBB0_107:                              ;   in Loop: Header=BB0_102 Depth=2
	s_or_b64 exec, exec, s[44:45]
	s_add_u32 s47, s42, 1
	v_cmp_ne_u32_e32 vcc, s47, v0
	s_addc_u32 s43, s43, 0
	s_or_b64 s[44:45], s[12:13], vcc
	s_nor_b64 s[48:49], s[44:45], s[4:5]
	s_and_saveexec_b64 s[44:45], s[48:49]
	s_cbranch_execz .LBB0_109
; %bb.108:                              ;   in Loop: Header=BB0_102 Depth=2
	global_load_dword v12, v[6:7], off
	ds_read_b32 v13, v16
	s_waitcnt vmcnt(0) lgkmcnt(0)
	v_div_scale_f32 v14, s[48:49], v12, v12, v13
	v_div_scale_f32 v15, vcc, v13, v12, v13
	v_rcp_f32_e32 v21, v14
	v_fma_f32 v22, -v14, v21, 1.0
	v_fmac_f32_e32 v21, v22, v21
	v_mul_f32_e32 v22, v15, v21
	v_fma_f32 v23, -v14, v22, v15
	v_fmac_f32_e32 v22, v23, v21
	v_fma_f32 v14, -v14, v22, v15
	v_div_fmas_f32 v14, v14, v21, v22
	v_div_fixup_f32 v12, v14, v12, v13
	ds_write_b32 v16, v12
.LBB0_109:                              ;   in Loop: Header=BB0_102 Depth=2
	s_or_b64 exec, exec, s[44:45]
	v_cmp_lt_u32_e32 vcc, s47, v0
	s_waitcnt lgkmcnt(0)
	s_barrier
	s_and_saveexec_b64 s[44:45], vcc
	s_cbranch_execz .LBB0_101
; %bb.110:                              ;   in Loop: Header=BB0_102 Depth=2
	s_add_i32 s42, s30, s42
	s_add_i32 s42, s42, 1
	s_cmp_lt_i32 s42, s17
	s_cselect_b64 s[48:49], -1, 0
	s_xor_b64 s[50:51], s[2:3], -1
	s_and_b64 s[48:49], s[50:51], s[48:49]
	s_and_b64 exec, exec, s[48:49]
	s_cbranch_execz .LBB0_101
; %bb.111:                              ;   in Loop: Header=BB0_102 Depth=2
	s_lshl_b64 s[48:49], s[36:37], 1
	s_and_b32 s42, s48, -4
	v_mov_b32_e32 v13, s49
	v_add_co_u32_e32 v12, vcc, s42, v10
	v_addc_co_u32_e32 v13, vcc, v11, v13, vcc
	global_load_dword v12, v[12:13], off
	v_mov_b32_e32 v13, s46
	ds_read_b32 v13, v13 offset:4
	ds_read_b32 v14, v16
	s_waitcnt vmcnt(0) lgkmcnt(0)
	v_fma_f32 v12, -v12, v13, v14
	ds_write_b32 v16, v12
	s_branch .LBB0_101
.LBB0_112:                              ;   in Loop: Header=BB0_98 Depth=1
	s_add_u32 s2, s30, 0x200
	s_addc_u32 s3, s31, 0
	s_cmp_ge_i32 s2, s17
	s_cselect_b64 s[4:5], -1, 0
	s_and_b64 vcc, exec, s[4:5]
	s_waitcnt lgkmcnt(0)
	s_barrier
	s_cbranch_vccnz .LBB0_131
; %bb.113:                              ;   in Loop: Header=BB0_98 Depth=1
	v_ashrrev_i32_e32 v7, 31, v18
	v_mov_b32_e32 v8, s25
	v_add_co_u32_e32 v6, vcc, s24, v18
	v_addc_co_u32_e32 v7, vcc, v8, v7, vcc
	v_lshlrev_b64 v[8:9], 2, v[6:7]
	v_mov_b32_e32 v7, s57
	v_add_co_u32_e32 v6, vcc, s56, v8
	v_addc_co_u32_e32 v7, vcc, v7, v9, vcc
	v_add_co_u32_e32 v8, vcc, s55, v8
	v_mov_b32_e32 v11, v1
	s_mov_b32 s31, s2
	v_addc_co_u32_e32 v9, vcc, v17, v9, vcc
	s_mov_b64 s[34:35], 0
	v_mov_b32_e32 v10, v0
                                        ; implicit-def: $sgpr36_sgpr37
	s_branch .LBB0_116
.LBB0_114:                              ;   in Loop: Header=BB0_116 Depth=2
	v_mad_u64_u32 v[12:13], s[40:41], s10, v22, 0
	s_addk_i32 s31, 0x200
	s_cmp_ge_i32 s31, s17
	v_mad_u64_u32 v[13:14], s[40:41], s11, v22, v[13:14]
	v_mov_b32_e32 v14, s54
	s_cselect_b64 s[40:41], -1, 0
	v_lshlrev_b64 v[12:13], 2, v[12:13]
	s_andn2_b64 s[36:37], s[36:37], exec
	v_add_co_u32_e32 v12, vcc, s33, v12
	v_addc_co_u32_e32 v13, vcc, v14, v13, vcc
	global_load_dword v14, v[12:13], off
	v_add_co_u32_e32 v6, vcc, 0x800, v6
	v_addc_co_u32_e32 v7, vcc, 0, v7, vcc
	v_add_co_u32_e32 v8, vcc, 0x800, v8
	s_and_b64 s[40:41], s[40:41], exec
	v_addc_co_u32_e32 v9, vcc, 0, v9, vcc
	s_or_b64 s[36:37], s[36:37], s[40:41]
	s_waitcnt vmcnt(0)
	v_sub_f32_e32 v14, v14, v21
	global_store_dword v[12:13], v14, off
.LBB0_115:                              ;   in Loop: Header=BB0_116 Depth=2
	s_or_b64 exec, exec, s[38:39]
	s_and_b64 s[38:39], exec, s[36:37]
	s_or_b64 s[34:35], s[38:39], s[34:35]
	s_andn2_b64 exec, exec, s[34:35]
	s_cbranch_execz .LBB0_130
.LBB0_116:                              ;   Parent Loop BB0_98 Depth=1
                                        ; =>  This Loop Header: Depth=2
                                        ;       Child Loop BB0_118 Depth 3
	v_add_u32_e32 v22, s31, v0
	v_cmp_gt_i32_e32 vcc, s17, v22
	s_or_b64 s[36:37], s[36:37], exec
	s_and_saveexec_b64 s[38:39], vcc
	s_cbranch_execz .LBB0_115
; %bb.117:                              ;   in Loop: Header=BB0_116 Depth=2
	v_add_co_u32_e32 v23, vcc, 0x1ff, v10
	v_add_co_u32_e32 v10, vcc, 0x200, v10
	v_mov_b32_e32 v13, v9
	v_mov_b32_e32 v15, v7
	v_addc_co_u32_e32 v11, vcc, 0, v11, vcc
	v_mov_b32_e32 v21, 0
	s_mov_b64 s[40:41], 0
	s_mov_b32 s58, 0
	s_mov_b64 s[42:43], s[22:23]
	s_mov_b64 s[46:47], s[20:21]
	v_mov_b32_e32 v12, v8
	s_mov_b64 s[44:45], s[8:9]
	s_mov_b64 s[48:49], s[18:19]
	v_mov_b32_e32 v14, v6
.LBB0_118:                              ;   Parent Loop BB0_98 Depth=1
                                        ;     Parent Loop BB0_116 Depth=2
                                        ; =>    This Inner Loop Header: Depth=3
	v_cmp_ne_u32_e32 vcc, s40, v10
	s_xor_b64 s[50:51], s[12:13], -1
	s_add_u32 s59, s30, s40
	s_or_b64 s[52:53], s[50:51], vcc
	s_and_saveexec_b64 s[60:61], s[52:53]
	s_xor_b64 s[52:53], exec, s[60:61]
	s_cbranch_execz .LBB0_121
; %bb.119:                              ;   in Loop: Header=BB0_118 Depth=3
	s_cmp_ge_i32 s59, s17
	s_cbranch_scc1 .LBB0_121
; %bb.120:                              ;   in Loop: Header=BB0_118 Depth=3
	s_lshl_b64 s[60:61], s[42:43], 1
	s_and_b32 s60, s60, -4
	v_mov_b32_e32 v25, s61
	v_add_co_u32_e32 v24, vcc, s60, v12
	v_addc_co_u32_e32 v25, vcc, v13, v25, vcc
	global_load_dword v24, v[24:25], off
	v_mov_b32_e32 v25, s58
	ds_read_b32 v25, v25
	s_waitcnt vmcnt(0) lgkmcnt(0)
	v_fmac_f32_e32 v21, v24, v25
.LBB0_121:                              ;   in Loop: Header=BB0_118 Depth=3
	s_andn2_saveexec_b64 s[52:53], s[52:53]
	s_cbranch_execz .LBB0_123
; %bb.122:                              ;   in Loop: Header=BB0_118 Depth=3
	v_mov_b32_e32 v24, s58
	ds_read_b32 v24, v24
	s_waitcnt lgkmcnt(0)
	v_add_f32_e32 v21, v21, v24
.LBB0_123:                              ;   in Loop: Header=BB0_118 Depth=3
	s_or_b64 exec, exec, s[52:53]
	v_cmp_ne_u32_e32 vcc, s40, v23
	s_or_b64 s[50:51], s[50:51], vcc
	s_and_saveexec_b64 s[52:53], s[50:51]
	s_xor_b64 s[50:51], exec, s[52:53]
	s_cbranch_execz .LBB0_126
; %bb.124:                              ;   in Loop: Header=BB0_118 Depth=3
	s_add_i32 s59, s59, 1
	s_cmp_ge_i32 s59, s17
	s_cbranch_scc1 .LBB0_126
; %bb.125:                              ;   in Loop: Header=BB0_118 Depth=3
	s_lshl_b64 s[52:53], s[44:45], 1
	s_and_b32 s52, s52, -4
	v_mov_b32_e32 v25, s53
	v_add_co_u32_e32 v24, vcc, s52, v14
	v_addc_co_u32_e32 v25, vcc, v15, v25, vcc
	global_load_dword v24, v[24:25], off
	v_mov_b32_e32 v25, s58
	ds_read_b32 v25, v25 offset:4
	s_waitcnt vmcnt(0) lgkmcnt(0)
	v_fmac_f32_e32 v21, v24, v25
.LBB0_126:                              ;   in Loop: Header=BB0_118 Depth=3
	s_andn2_saveexec_b64 s[50:51], s[50:51]
	s_cbranch_execz .LBB0_128
; %bb.127:                              ;   in Loop: Header=BB0_118 Depth=3
	v_mov_b32_e32 v24, s58
	ds_read_b32 v24, v24 offset:4
	s_waitcnt lgkmcnt(0)
	v_add_f32_e32 v21, v21, v24
.LBB0_128:                              ;   in Loop: Header=BB0_118 Depth=3
	s_or_b64 exec, exec, s[50:51]
	s_add_u32 s40, s40, 2
	s_addc_u32 s41, s41, 0
	s_add_i32 s58, s58, 8
	s_add_u32 s50, s48, -8
	s_addc_u32 s51, s49, -1
	s_add_u32 s44, s44, s48
	s_addc_u32 s45, s45, s49
	s_add_u32 s48, s46, -8
	v_add_co_u32_e32 v14, vcc, -8, v14
	s_addc_u32 s49, s47, -1
	v_addc_co_u32_e32 v15, vcc, -1, v15, vcc
	s_add_u32 s42, s42, s46
	s_addc_u32 s43, s43, s47
	v_add_co_u32_e32 v12, vcc, -8, v12
	s_cmpk_eq_i32 s40, 0x200
	v_addc_co_u32_e32 v13, vcc, -1, v13, vcc
	s_cbranch_scc1 .LBB0_114
; %bb.129:                              ;   in Loop: Header=BB0_118 Depth=3
	s_mov_b64 s[46:47], s[48:49]
	s_mov_b64 s[48:49], s[50:51]
	s_branch .LBB0_118
.LBB0_130:                              ;   in Loop: Header=BB0_98 Depth=1
	s_or_b64 exec, exec, s[34:35]
.LBB0_131:                              ;   in Loop: Header=BB0_98 Depth=1
	s_and_saveexec_b64 s[30:31], s[0:1]
	s_cbranch_execz .LBB0_97
; %bb.132:                              ;   in Loop: Header=BB0_98 Depth=1
	v_mad_u64_u32 v[6:7], s[0:1], s10, v20, 0
	v_mov_b32_e32 v9, s54
	v_mad_u64_u32 v[7:8], s[0:1], s11, v20, v[7:8]
	ds_read_b32 v8, v16
	v_lshlrev_b64 v[6:7], 2, v[6:7]
	v_add_co_u32_e32 v6, vcc, s33, v6
	v_addc_co_u32_e32 v7, vcc, v9, v7, vcc
	s_waitcnt lgkmcnt(0)
	global_store_dword v[6:7], v8, off
	s_branch .LBB0_97
.LBB0_133:
	s_mov_b64 s[0:1], 0
.LBB0_134:
	s_andn2_b64 vcc, exec, s[0:1]
	s_cbranch_vccnz .LBB0_180
; %bb.135:
	s_andn2_b64 vcc, exec, s[6:7]
	s_cbranch_vccnz .LBB0_180
; %bb.136:
	v_mov_b32_e32 v1, 0x1000
	v_mov_b32_e32 v3, 0
	s_add_i32 s28, s17, 0xfffffe00
	v_lshl_or_b32 v12, v0, 2, v1
	v_add_u32_e32 v13, 0xfffffe01, v0
	s_mov_b32 s26, 0
	s_mov_b32 s27, s17
	v_mov_b32_e32 v1, v3
	v_mov_b32_e32 v14, s15
	s_xor_b64 s[4:5], s[12:13], -1
	s_branch .LBB0_138
.LBB0_137:                              ;   in Loop: Header=BB0_138 Depth=1
	s_or_b64 exec, exec, s[6:7]
	s_add_u32 s27, s27, 0xfffffe00
	s_addc_u32 s26, s26, -1
	s_and_b64 vcc, exec, s[2:3]
	s_mov_b32 s28, s15
	s_waitcnt vmcnt(0)
	s_barrier
	s_cbranch_vccnz .LBB0_180
.LBB0_138:                              ; =>This Loop Header: Depth=1
                                        ;     Child Loop BB0_143 Depth 2
                                        ;     Child Loop BB0_158 Depth 2
                                        ;       Child Loop BB0_161 Depth 3
	v_add_u32_e32 v4, s28, v0
	v_cmp_gt_i32_e32 vcc, 0, v4
	v_cmp_lt_i32_e64 s[0:1], -1, v4
	v_mov_b32_e32 v5, v3
	s_and_saveexec_b64 s[6:7], s[0:1]
	s_cbranch_execz .LBB0_140
; %bb.139:                              ;   in Loop: Header=BB0_138 Depth=1
	v_mad_u64_u32 v[6:7], s[2:3], s10, v4, 0
	v_mov_b32_e32 v2, v7
	v_mad_u64_u32 v[7:8], s[2:3], s11, v4, v[2:3]
	v_mov_b32_e32 v2, s54
	v_lshlrev_b64 v[6:7], 2, v[6:7]
	v_add_co_u32_e64 v6, s[2:3], s33, v6
	v_addc_co_u32_e64 v7, s[2:3], v2, v7, s[2:3]
	global_load_dword v2, v[6:7], off
	s_waitcnt vmcnt(0)
	ds_write_b32 v12, v2
.LBB0_140:                              ;   in Loop: Header=BB0_138 Depth=1
	s_or_b64 exec, exec, s[6:7]
	v_add_u32_e32 v2, 1, v4
	v_mad_u64_u32 v[8:9], s[2:3], v4, v2, 0
	v_lshlrev_b64 v[10:11], 2, v[4:5]
	v_ashrrev_i32_e32 v7, 31, v4
	v_mov_b32_e32 v6, v4
	v_add_co_u32_e64 v10, s[2:3], s14, v10
	v_lshlrev_b64 v[5:6], 2, v[6:7]
	v_addc_co_u32_e64 v11, s[2:3], v14, v11, s[2:3]
	v_lshlrev_b64 v[8:9], 1, v[8:9]
	v_add_co_u32_e64 v2, s[2:3], s14, v5
	v_addc_co_u32_e64 v7, s[2:3], v14, v6, s[2:3]
	v_and_b32_e32 v5, -4, v8
	v_add_co_u32_e64 v5, s[2:3], v10, v5
	v_addc_co_u32_e64 v6, s[2:3], v11, v9, s[2:3]
	s_or_b64 s[2:3], s[12:13], vcc
	s_movk_i32 s15, 0x1ff
	s_movk_i32 s16, 0x17f8
	v_mov_b32_e32 v9, s27
	s_xor_b64 s[6:7], s[2:3], -1
	v_mov_b32_e32 v8, v13
	s_waitcnt lgkmcnt(0)
	s_barrier
	s_branch .LBB0_143
.LBB0_141:                              ;   in Loop: Header=BB0_143 Depth=2
	s_or_b64 exec, exec, s[8:9]
	v_mov_b32_e32 v9, v11
.LBB0_142:                              ;   in Loop: Header=BB0_143 Depth=2
	s_or_b64 exec, exec, s[2:3]
	s_add_i32 s15, s15, -2
	s_add_i32 s16, s16, -8
	s_cmp_eq_u32 s17, 0
	v_add_u32_e32 v8, 2, v8
	s_cbranch_scc1 .LBB0_154
.LBB0_143:                              ;   Parent Loop BB0_138 Depth=1
                                        ; =>  This Inner Loop Header: Depth=2
	v_cmp_eq_u32_e32 vcc, 0, v8
	s_and_b64 s[8:9], vcc, s[6:7]
	s_and_saveexec_b64 s[2:3], s[8:9]
	s_cbranch_execz .LBB0_145
; %bb.144:                              ;   in Loop: Header=BB0_143 Depth=2
	global_load_dword v10, v[5:6], off
	ds_read_b32 v11, v12
	s_waitcnt vmcnt(0) lgkmcnt(0)
	v_div_scale_f32 v15, s[8:9], v10, v10, v11
	v_div_scale_f32 v16, vcc, v11, v10, v11
	v_rcp_f32_e32 v17, v15
	v_fma_f32 v18, -v15, v17, 1.0
	v_fmac_f32_e32 v17, v18, v17
	v_mul_f32_e32 v18, v16, v17
	v_fma_f32 v19, -v15, v18, v16
	v_fmac_f32_e32 v18, v19, v17
	v_fma_f32 v15, -v15, v18, v16
	v_div_fmas_f32 v15, v15, v17, v18
	v_div_fixup_f32 v10, v15, v10, v11
	ds_write_b32 v12, v10
.LBB0_145:                              ;   in Loop: Header=BB0_143 Depth=2
	s_or_b64 exec, exec, s[2:3]
	v_add_u32_e32 v10, -1, v9
	v_or_b32_e32 v11, v4, v10
	v_cmp_gt_u32_e32 vcc, s15, v0
	v_cmp_lt_i32_e64 s[2:3], -1, v11
	s_and_b64 s[8:9], vcc, s[2:3]
	s_waitcnt lgkmcnt(0)
	s_barrier
	s_and_saveexec_b64 s[2:3], s[8:9]
	s_cbranch_execz .LBB0_147
; %bb.146:                              ;   in Loop: Header=BB0_143 Depth=2
	v_mad_u64_u32 v[15:16], s[8:9], v9, v10, 0
	v_lshlrev_b64 v[15:16], 1, v[15:16]
	v_and_b32_e32 v11, -4, v15
	v_add_co_u32_e32 v15, vcc, v2, v11
	v_addc_co_u32_e32 v16, vcc, v7, v16, vcc
	global_load_dword v11, v[15:16], off
	v_mov_b32_e32 v15, s16
	ds_read_b32 v15, v15 offset:4
	ds_read_b32 v16, v12
	s_waitcnt vmcnt(0) lgkmcnt(0)
	v_fma_f32 v11, -v11, v15, v16
	ds_write_b32 v12, v11
.LBB0_147:                              ;   in Loop: Header=BB0_143 Depth=2
	s_or_b64 exec, exec, s[2:3]
	s_add_i32 s17, s15, -1
	v_cmp_eq_u32_e32 vcc, s17, v0
	s_and_b64 s[8:9], vcc, s[6:7]
	s_and_saveexec_b64 s[2:3], s[8:9]
	s_cbranch_execz .LBB0_149
; %bb.148:                              ;   in Loop: Header=BB0_143 Depth=2
	global_load_dword v11, v[5:6], off
	ds_read_b32 v15, v12
	s_waitcnt vmcnt(0) lgkmcnt(0)
	v_div_scale_f32 v16, s[8:9], v11, v11, v15
	v_div_scale_f32 v17, vcc, v15, v11, v15
	v_rcp_f32_e32 v18, v16
	v_fma_f32 v19, -v16, v18, 1.0
	v_fmac_f32_e32 v18, v19, v18
	v_mul_f32_e32 v19, v17, v18
	v_fma_f32 v20, -v16, v19, v17
	v_fmac_f32_e32 v19, v20, v18
	v_fma_f32 v16, -v16, v19, v17
	v_div_fmas_f32 v16, v16, v18, v19
	v_div_fixup_f32 v11, v16, v11, v15
	ds_write_b32 v12, v11
.LBB0_149:                              ;   in Loop: Header=BB0_143 Depth=2
	s_or_b64 exec, exec, s[2:3]
	v_cmp_le_u32_e32 vcc, s17, v0
	v_add_u32_e32 v11, -2, v9
	s_waitcnt lgkmcnt(0)
	s_barrier
	s_and_saveexec_b64 s[2:3], vcc
	s_xor_b64 s[2:3], exec, s[2:3]
; %bb.150:                              ;   in Loop: Header=BB0_143 Depth=2
	v_add_u32_e32 v9, -2, v9
                                        ; implicit-def: $vgpr11
                                        ; implicit-def: $vgpr10
; %bb.151:                              ;   in Loop: Header=BB0_143 Depth=2
	s_andn2_saveexec_b64 s[2:3], s[2:3]
	s_cbranch_execz .LBB0_142
; %bb.152:                              ;   in Loop: Header=BB0_143 Depth=2
	v_or_b32_e32 v9, v4, v11
	v_cmp_lt_i32_e32 vcc, -1, v9
	s_and_saveexec_b64 s[8:9], vcc
	s_cbranch_execz .LBB0_141
; %bb.153:                              ;   in Loop: Header=BB0_143 Depth=2
	v_mad_u64_u32 v[9:10], s[18:19], v10, v11, 0
	v_lshlrev_b64 v[9:10], 1, v[9:10]
	v_and_b32_e32 v9, -4, v9
	v_add_co_u32_e32 v9, vcc, v2, v9
	v_addc_co_u32_e32 v10, vcc, v7, v10, vcc
	global_load_dword v9, v[9:10], off
	v_mov_b32_e32 v10, s16
	ds_read_b32 v10, v10
	ds_read_b32 v15, v12
	s_waitcnt vmcnt(0) lgkmcnt(0)
	v_fma_f32 v9, -v9, v10, v15
	ds_write_b32 v12, v9
	s_branch .LBB0_141
.LBB0_154:                              ;   in Loop: Header=BB0_138 Depth=1
	s_add_i32 s15, s28, 0xfffffe00
	s_cmp_lt_i32 s28, 1
	s_cselect_b64 s[2:3], -1, 0
	s_and_b64 vcc, exec, s[2:3]
	s_waitcnt lgkmcnt(0)
	s_barrier
	s_cbranch_vccnz .LBB0_178
; %bb.155:                              ;   in Loop: Header=BB0_138 Depth=1
	v_mov_b32_e32 v6, v1
	s_mov_b64 s[6:7], 0
	v_mov_b32_e32 v5, v0
	s_mov_b32 s29, s15
                                        ; implicit-def: $sgpr8_sgpr9
	s_branch .LBB0_158
.LBB0_156:                              ;   in Loop: Header=BB0_158 Depth=2
	v_mad_u64_u32 v[7:8], s[18:19], s10, v2, 0
	s_add_i32 s20, s29, 0xfffffe00
	s_cmp_lt_i32 s29, 1
	v_mad_u64_u32 v[8:9], s[18:19], s11, v2, v[8:9]
	v_mov_b32_e32 v2, s54
	s_cselect_b64 s[18:19], -1, 0
	v_lshlrev_b64 v[7:8], 2, v[7:8]
	s_andn2_b64 s[8:9], s[8:9], exec
	v_add_co_u32_e32 v7, vcc, s33, v7
	v_addc_co_u32_e32 v8, vcc, v2, v8, vcc
	global_load_dword v2, v[7:8], off
	v_add_co_u32_e32 v5, vcc, 0xfffffe00, v5
	s_and_b64 s[18:19], s[18:19], exec
	v_addc_co_u32_e32 v6, vcc, -1, v6, vcc
	s_or_b64 s[8:9], s[8:9], s[18:19]
	s_mov_b32 s29, s20
	s_waitcnt vmcnt(0)
	v_sub_f32_e32 v2, v2, v15
	global_store_dword v[7:8], v2, off
.LBB0_157:                              ;   in Loop: Header=BB0_158 Depth=2
	s_or_b64 exec, exec, s[16:17]
	s_and_b64 s[16:17], exec, s[8:9]
	s_or_b64 s[6:7], s[16:17], s[6:7]
	s_andn2_b64 exec, exec, s[6:7]
	s_cbranch_execz .LBB0_177
.LBB0_158:                              ;   Parent Loop BB0_138 Depth=1
                                        ; =>  This Loop Header: Depth=2
                                        ;       Child Loop BB0_161 Depth 3
	v_add_u32_e32 v2, s29, v0
	v_cmp_lt_i32_e32 vcc, -1, v2
	s_or_b64 s[8:9], s[8:9], exec
	s_and_saveexec_b64 s[16:17], vcc
	s_cbranch_execz .LBB0_157
; %bb.159:                              ;   in Loop: Header=BB0_158 Depth=2
	v_lshlrev_b64 v[7:8], 2, v[2:3]
	v_mov_b32_e32 v15, 0
	v_add_co_u32_e32 v16, vcc, s14, v7
	v_addc_co_u32_e32 v17, vcc, v14, v8, vcc
	v_add_co_u32_e32 v18, vcc, 0xfffffdfd, v5
	v_add_co_u32_e32 v19, vcc, 0xfffffdfe, v5
	;; [unrolled: 1-line block ×4, first 2 shown]
	s_movk_i32 s30, 0x1000
	s_mov_b64 s[18:19], 0
	s_branch .LBB0_161
.LBB0_160:                              ;   in Loop: Header=BB0_161 Depth=3
	s_or_b64 exec, exec, s[20:21]
	s_waitcnt lgkmcnt(0)
	v_add_f32_e32 v7, v15, v22
	s_add_i32 s30, s30, 16
	v_add_f32_e32 v7, v7, v11
	s_add_u32 s18, s18, 4
	v_add_f32_e32 v7, v7, v23
	s_addc_u32 s19, s19, 0
	s_cmpk_eq_i32 s18, 0x200
	v_add_f32_e32 v15, v7, v8
	s_cbranch_scc1 .LBB0_156
.LBB0_161:                              ;   Parent Loop BB0_138 Depth=1
                                        ;     Parent Loop BB0_158 Depth=2
                                        ; =>    This Inner Loop Header: Depth=3
	v_cmp_ne_u32_e32 vcc, s18, v21
	s_or_b64 s[24:25], s[4:5], vcc
                                        ; implicit-def: $vgpr22
                                        ; implicit-def: $sgpr20_sgpr21
                                        ; implicit-def: $sgpr22_sgpr23
	s_and_saveexec_b64 s[34:35], s[24:25]
	s_xor_b64 s[24:25], exec, s[34:35]
	s_cbranch_execz .LBB0_163
; %bb.162:                              ;   in Loop: Header=BB0_161 Depth=3
	s_add_u32 s20, s27, s18
	s_addc_u32 s21, s26, s19
	s_add_u32 s22, s20, 0xfffffe01
	s_addc_u32 s23, s21, 0
	;; [unrolled: 2-line block ×3, first 2 shown]
	s_mul_i32 s34, s22, s34
	s_mul_hi_u32 s35, s22, s31
	s_add_i32 s35, s35, s34
	s_mul_i32 s34, s22, s31
	s_lshl_b64 s[34:35], s[34:35], 1
	s_and_b32 s31, s34, -4
	v_mov_b32_e32 v8, s35
	v_add_co_u32_e32 v7, vcc, s31, v16
	v_addc_co_u32_e32 v8, vcc, v17, v8, vcc
	global_load_dword v7, v[7:8], off
	v_mov_b32_e32 v8, s30
	ds_read_b32 v8, v8
	s_waitcnt vmcnt(0) lgkmcnt(0)
	v_mul_f32_e32 v22, v7, v8
.LBB0_163:                              ;   in Loop: Header=BB0_161 Depth=3
	s_or_saveexec_b64 s[24:25], s[24:25]
	v_mov_b32_e32 v10, s22
	v_mov_b32_e32 v7, s20
	;; [unrolled: 1-line block ×4, first 2 shown]
	s_xor_b64 exec, exec, s[24:25]
	s_cbranch_execz .LBB0_165
; %bb.164:                              ;   in Loop: Header=BB0_161 Depth=3
	v_mov_b32_e32 v7, s30
	ds_read_b32 v22, v7
	s_add_u32 s20, s27, s18
	s_addc_u32 s21, s26, s19
	s_add_u32 s22, s20, 0xfffffe01
	s_addc_u32 s23, s21, 0
	v_mov_b32_e32 v10, s22
	v_mov_b32_e32 v7, s20
	;; [unrolled: 1-line block ×4, first 2 shown]
.LBB0_165:                              ;   in Loop: Header=BB0_161 Depth=3
	s_or_b64 exec, exec, s[24:25]
	v_cmp_ne_u32_e32 vcc, s18, v20
	s_or_b64 s[20:21], s[4:5], vcc
                                        ; implicit-def: $vgpr11
                                        ; implicit-def: $vgpr8_vgpr9
	s_and_saveexec_b64 s[22:23], s[20:21]
	s_xor_b64 s[20:21], exec, s[22:23]
	s_cbranch_execz .LBB0_167
; %bb.166:                              ;   in Loop: Header=BB0_161 Depth=3
	v_add_co_u32_e32 v8, vcc, 0xfffffe02, v7
	v_mad_u64_u32 v[9:10], s[22:23], v8, v10, 0
	v_lshlrev_b64 v[9:10], 1, v[9:10]
	v_and_b32_e32 v9, -4, v9
	v_add_co_u32_e32 v9, vcc, v16, v9
	v_addc_co_u32_e32 v10, vcc, v17, v10, vcc
	global_load_dword v9, v[9:10], off
	v_mov_b32_e32 v10, s30
	ds_read_b32 v10, v10 offset:4
	s_waitcnt vmcnt(0) lgkmcnt(0)
	v_mul_f32_e32 v11, v9, v10
.LBB0_167:                              ;   in Loop: Header=BB0_161 Depth=3
	s_andn2_saveexec_b64 s[20:21], s[20:21]
; %bb.168:                              ;   in Loop: Header=BB0_161 Depth=3
	v_mov_b32_e32 v8, s30
	ds_read_b32 v11, v8 offset:4
	v_add_co_u32_e32 v8, vcc, 0xfffffe02, v7
; %bb.169:                              ;   in Loop: Header=BB0_161 Depth=3
	s_or_b64 exec, exec, s[20:21]
	v_cmp_ne_u32_e32 vcc, s18, v19
	s_or_b64 s[20:21], s[4:5], vcc
                                        ; implicit-def: $vgpr23
                                        ; implicit-def: $vgpr9_vgpr10
	s_and_saveexec_b64 s[22:23], s[20:21]
	s_xor_b64 s[20:21], exec, s[22:23]
	s_cbranch_execz .LBB0_171
; %bb.170:                              ;   in Loop: Header=BB0_161 Depth=3
	v_add_co_u32_e32 v9, vcc, 0xfffffe03, v7
	v_mad_u64_u32 v[23:24], s[22:23], v9, v8, 0
	v_mov_b32_e32 v10, s30
	ds_read_b32 v10, v10 offset:8
	v_lshlrev_b64 v[23:24], 1, v[23:24]
	v_and_b32_e32 v8, -4, v23
	v_add_co_u32_e32 v23, vcc, v16, v8
	v_addc_co_u32_e32 v24, vcc, v17, v24, vcc
	global_load_dword v8, v[23:24], off
	s_waitcnt vmcnt(0) lgkmcnt(0)
	v_mul_f32_e32 v23, v8, v10
.LBB0_171:                              ;   in Loop: Header=BB0_161 Depth=3
	s_andn2_saveexec_b64 s[20:21], s[20:21]
; %bb.172:                              ;   in Loop: Header=BB0_161 Depth=3
	v_mov_b32_e32 v8, s30
	ds_read_b32 v23, v8 offset:8
	v_add_co_u32_e32 v9, vcc, 0xfffffe03, v7
; %bb.173:                              ;   in Loop: Header=BB0_161 Depth=3
	s_or_b64 exec, exec, s[20:21]
	v_cmp_ne_u32_e32 vcc, s18, v18
	s_or_b64 s[20:21], s[4:5], vcc
                                        ; implicit-def: $vgpr8
	s_and_saveexec_b64 s[22:23], s[20:21]
	s_xor_b64 s[20:21], exec, s[22:23]
	s_cbranch_execz .LBB0_175
; %bb.174:                              ;   in Loop: Header=BB0_161 Depth=3
	v_add_u32_e32 v7, 0xfffffe04, v7
	v_mad_u64_u32 v[7:8], s[22:23], v7, v9, 0
	v_lshlrev_b64 v[7:8], 1, v[7:8]
	v_and_b32_e32 v7, -4, v7
	v_add_co_u32_e32 v7, vcc, v16, v7
	v_addc_co_u32_e32 v8, vcc, v17, v8, vcc
	global_load_dword v7, v[7:8], off
	v_mov_b32_e32 v8, s30
	ds_read_b32 v8, v8 offset:12
	s_waitcnt vmcnt(0) lgkmcnt(0)
	v_mul_f32_e32 v8, v7, v8
.LBB0_175:                              ;   in Loop: Header=BB0_161 Depth=3
	s_andn2_saveexec_b64 s[20:21], s[20:21]
	s_cbranch_execz .LBB0_160
; %bb.176:                              ;   in Loop: Header=BB0_161 Depth=3
	v_mov_b32_e32 v7, s30
	ds_read_b32 v8, v7 offset:12
	s_branch .LBB0_160
.LBB0_177:                              ;   in Loop: Header=BB0_138 Depth=1
	s_or_b64 exec, exec, s[6:7]
.LBB0_178:                              ;   in Loop: Header=BB0_138 Depth=1
	s_and_saveexec_b64 s[6:7], s[0:1]
	s_cbranch_execz .LBB0_137
; %bb.179:                              ;   in Loop: Header=BB0_138 Depth=1
	v_mad_u64_u32 v[5:6], s[0:1], s10, v4, 0
	v_mov_b32_e32 v2, v6
	v_mad_u64_u32 v[6:7], s[0:1], s11, v4, v[2:3]
	ds_read_b32 v2, v12
	v_mov_b32_e32 v7, s54
	v_lshlrev_b64 v[4:5], 2, v[5:6]
	v_add_co_u32_e32 v4, vcc, s33, v4
	v_addc_co_u32_e32 v5, vcc, v7, v5, vcc
	s_waitcnt lgkmcnt(0)
	global_store_dword v[4:5], v2, off
	s_branch .LBB0_137
.LBB0_180:
	s_endpgm
	.section	.rodata,"a",@progbits
	.p2align	6, 0x0
	.amdhsa_kernel _ZL19rocblas_tpsv_kernelILb1ELi512EPKfPfEv18rocblas_operation_bbiT1_llT2_lll
		.amdhsa_group_segment_fixed_size 8192
		.amdhsa_private_segment_fixed_size 0
		.amdhsa_kernarg_size 72
		.amdhsa_user_sgpr_count 6
		.amdhsa_user_sgpr_private_segment_buffer 1
		.amdhsa_user_sgpr_dispatch_ptr 0
		.amdhsa_user_sgpr_queue_ptr 0
		.amdhsa_user_sgpr_kernarg_segment_ptr 1
		.amdhsa_user_sgpr_dispatch_id 0
		.amdhsa_user_sgpr_flat_scratch_init 0
		.amdhsa_user_sgpr_private_segment_size 0
		.amdhsa_uses_dynamic_stack 0
		.amdhsa_system_sgpr_private_segment_wavefront_offset 0
		.amdhsa_system_sgpr_workgroup_id_x 1
		.amdhsa_system_sgpr_workgroup_id_y 0
		.amdhsa_system_sgpr_workgroup_id_z 0
		.amdhsa_system_sgpr_workgroup_info 0
		.amdhsa_system_vgpr_workitem_id 0
		.amdhsa_next_free_vgpr 26
		.amdhsa_next_free_sgpr 62
		.amdhsa_reserve_vcc 1
		.amdhsa_reserve_flat_scratch 0
		.amdhsa_float_round_mode_32 0
		.amdhsa_float_round_mode_16_64 0
		.amdhsa_float_denorm_mode_32 3
		.amdhsa_float_denorm_mode_16_64 3
		.amdhsa_dx10_clamp 1
		.amdhsa_ieee_mode 1
		.amdhsa_fp16_overflow 0
		.amdhsa_exception_fp_ieee_invalid_op 0
		.amdhsa_exception_fp_denorm_src 0
		.amdhsa_exception_fp_ieee_div_zero 0
		.amdhsa_exception_fp_ieee_overflow 0
		.amdhsa_exception_fp_ieee_underflow 0
		.amdhsa_exception_fp_ieee_inexact 0
		.amdhsa_exception_int_div_zero 0
	.end_amdhsa_kernel
	.section	.text._ZL19rocblas_tpsv_kernelILb1ELi512EPKfPfEv18rocblas_operation_bbiT1_llT2_lll,"axG",@progbits,_ZL19rocblas_tpsv_kernelILb1ELi512EPKfPfEv18rocblas_operation_bbiT1_llT2_lll,comdat
.Lfunc_end0:
	.size	_ZL19rocblas_tpsv_kernelILb1ELi512EPKfPfEv18rocblas_operation_bbiT1_llT2_lll, .Lfunc_end0-_ZL19rocblas_tpsv_kernelILb1ELi512EPKfPfEv18rocblas_operation_bbiT1_llT2_lll
                                        ; -- End function
	.set _ZL19rocblas_tpsv_kernelILb1ELi512EPKfPfEv18rocblas_operation_bbiT1_llT2_lll.num_vgpr, 26
	.set _ZL19rocblas_tpsv_kernelILb1ELi512EPKfPfEv18rocblas_operation_bbiT1_llT2_lll.num_agpr, 0
	.set _ZL19rocblas_tpsv_kernelILb1ELi512EPKfPfEv18rocblas_operation_bbiT1_llT2_lll.numbered_sgpr, 62
	.set _ZL19rocblas_tpsv_kernelILb1ELi512EPKfPfEv18rocblas_operation_bbiT1_llT2_lll.num_named_barrier, 0
	.set _ZL19rocblas_tpsv_kernelILb1ELi512EPKfPfEv18rocblas_operation_bbiT1_llT2_lll.private_seg_size, 0
	.set _ZL19rocblas_tpsv_kernelILb1ELi512EPKfPfEv18rocblas_operation_bbiT1_llT2_lll.uses_vcc, 1
	.set _ZL19rocblas_tpsv_kernelILb1ELi512EPKfPfEv18rocblas_operation_bbiT1_llT2_lll.uses_flat_scratch, 0
	.set _ZL19rocblas_tpsv_kernelILb1ELi512EPKfPfEv18rocblas_operation_bbiT1_llT2_lll.has_dyn_sized_stack, 0
	.set _ZL19rocblas_tpsv_kernelILb1ELi512EPKfPfEv18rocblas_operation_bbiT1_llT2_lll.has_recursion, 0
	.set _ZL19rocblas_tpsv_kernelILb1ELi512EPKfPfEv18rocblas_operation_bbiT1_llT2_lll.has_indirect_call, 0
	.section	.AMDGPU.csdata,"",@progbits
; Kernel info:
; codeLenInByte = 7032
; TotalNumSgprs: 66
; NumVgprs: 26
; ScratchSize: 0
; MemoryBound: 0
; FloatMode: 240
; IeeeMode: 1
; LDSByteSize: 8192 bytes/workgroup (compile time only)
; SGPRBlocks: 8
; VGPRBlocks: 6
; NumSGPRsForWavesPerEU: 66
; NumVGPRsForWavesPerEU: 26
; Occupancy: 9
; WaveLimiterHint : 0
; COMPUTE_PGM_RSRC2:SCRATCH_EN: 0
; COMPUTE_PGM_RSRC2:USER_SGPR: 6
; COMPUTE_PGM_RSRC2:TRAP_HANDLER: 0
; COMPUTE_PGM_RSRC2:TGID_X_EN: 1
; COMPUTE_PGM_RSRC2:TGID_Y_EN: 0
; COMPUTE_PGM_RSRC2:TGID_Z_EN: 0
; COMPUTE_PGM_RSRC2:TIDIG_COMP_CNT: 0
	.section	.text._ZL19rocblas_tpsv_kernelILb0ELi512EPKfPfEv18rocblas_operation_bbiT1_llT2_lll,"axG",@progbits,_ZL19rocblas_tpsv_kernelILb0ELi512EPKfPfEv18rocblas_operation_bbiT1_llT2_lll,comdat
	.globl	_ZL19rocblas_tpsv_kernelILb0ELi512EPKfPfEv18rocblas_operation_bbiT1_llT2_lll ; -- Begin function _ZL19rocblas_tpsv_kernelILb0ELi512EPKfPfEv18rocblas_operation_bbiT1_llT2_lll
	.p2align	8
	.type	_ZL19rocblas_tpsv_kernelILb0ELi512EPKfPfEv18rocblas_operation_bbiT1_llT2_lll,@function
_ZL19rocblas_tpsv_kernelILb0ELi512EPKfPfEv18rocblas_operation_bbiT1_llT2_lll: ; @_ZL19rocblas_tpsv_kernelILb0ELi512EPKfPfEv18rocblas_operation_bbiT1_llT2_lll
; %bb.0:
	s_load_dwordx2 s[26:27], s[4:5], 0x0
	s_load_dwordx2 s[16:17], s[4:5], 0x4
	;; [unrolled: 1-line block ×3, first 2 shown]
	s_load_dwordx4 s[0:3], s[4:5], 0x18
	s_load_dwordx2 s[28:29], s[4:5], 0x28
	s_waitcnt lgkmcnt(0)
	s_bitcmp1_b32 s27, 0
	s_cselect_b64 s[8:9], -1, 0
	s_xor_b64 s[22:23], s[8:9], -1
	s_bitcmp1_b32 s16, 8
	s_load_dwordx4 s[8:11], s[4:5], 0x30
	s_load_dwordx2 s[30:31], s[4:5], 0x40
	s_mul_i32 s3, s3, s6
	s_mul_hi_u32 s4, s2, s6
	s_cselect_b64 s[12:13], -1, 0
	s_add_i32 s3, s4, s3
	s_mul_i32 s2, s2, s6
	s_lshl_b64 s[20:21], s[2:3], 2
	s_add_u32 s2, s18, s20
	s_addc_u32 s3, s19, s21
	s_lshl_b64 s[24:25], s[0:1], 2
	s_add_u32 s14, s2, s24
	s_waitcnt lgkmcnt(0)
	s_mul_i32 s0, s31, s6
	s_mul_hi_u32 s1, s30, s6
	s_addc_u32 s15, s3, s25
	s_add_i32 s1, s1, s0
	s_mul_i32 s0, s30, s6
	s_lshl_b64 s[0:1], s[0:1], 2
	s_add_u32 s2, s28, s0
	s_addc_u32 s3, s29, s1
	s_lshl_b64 s[0:1], s[8:9], 2
	s_add_u32 s33, s2, s0
	s_addc_u32 s54, s3, s1
	s_cmp_gt_i32 s17, 0
	s_cselect_b64 s[6:7], -1, 0
	s_cmpk_lg_i32 s26, 0x6f
	s_mov_b64 s[0:1], -1
	s_cbranch_scc0 .LBB1_93
; %bb.1:
	s_and_b64 vcc, exec, s[22:23]
	s_cbranch_vccz .LBB1_44
; %bb.2:
	s_andn2_b64 vcc, exec, s[6:7]
	s_cbranch_vccnz .LBB1_43
; %bb.3:
	s_lshl_b32 s2, s17, 1
	s_add_i32 s30, s17, 0xfffffe00
	s_or_b32 s16, s2, 1
	s_add_u32 s3, s20, s24
	s_addc_u32 s4, s21, s25
	s_ashr_i32 s1, s17, 31
	s_mov_b32 s0, s17
	s_lshl_b64 s[0:1], s[0:1], 2
	s_add_u32 s0, s3, s0
	s_addc_u32 s1, s4, s1
	s_add_u32 s0, s18, s0
	v_mov_b32_e32 v1, 0x800
	s_addc_u32 s1, s19, s1
	v_lshl_or_b32 v7, v0, 2, v1
	s_add_u32 s4, s0, 0xfffff800
	v_add_u32_e32 v1, s17, v0
	v_xor_b32_e32 v8, 0x1ff, v0
	s_addc_u32 s5, s1, -1
	v_add_u32_e32 v9, 0xfffffc00, v1
	s_ashr_i32 s36, s2, 31
	v_mov_b32_e32 v2, 0
	v_mov_b32_e32 v10, s15
	s_movk_i32 s37, 0x400
	s_movk_i32 s38, 0x401
	;; [unrolled: 1-line block ×4, first 2 shown]
	s_xor_b64 s[8:9], s[12:13], -1
	s_movk_i32 s41, 0x800
	s_branch .LBB1_5
.LBB1_4:                                ;   in Loop: Header=BB1_5 Depth=1
	s_or_b64 exec, exec, s[26:27]
	s_add_u32 s4, s4, 0xfffff800
	s_addc_u32 s5, s5, -1
	v_add_u32_e32 v9, 0xfffffe00, v9
	s_andn2_b64 vcc, exec, s[2:3]
	s_mov_b32 s30, s42
	s_waitcnt vmcnt(0)
	s_barrier
	s_cbranch_vccz .LBB1_43
.LBB1_5:                                ; =>This Loop Header: Depth=1
                                        ;     Child Loop BB1_9 Depth 2
                                        ;     Child Loop BB1_21 Depth 2
                                        ;       Child Loop BB1_24 Depth 3
	v_add_u32_e32 v11, s30, v0
	v_cmp_gt_i32_e64 s[2:3], 0, v11
	v_cmp_lt_i32_e64 s[0:1], -1, v11
	s_and_saveexec_b64 s[26:27], s[0:1]
	s_cbranch_execz .LBB1_7
; %bb.6:                                ;   in Loop: Header=BB1_5 Depth=1
	v_mad_u64_u32 v[3:4], s[28:29], s10, v11, 0
	v_mov_b32_e32 v1, v4
	v_mad_u64_u32 v[4:5], s[28:29], s11, v11, v[1:2]
	v_mov_b32_e32 v1, s54
	v_lshlrev_b64 v[3:4], 2, v[3:4]
	v_add_co_u32_e32 v3, vcc, s33, v3
	v_addc_co_u32_e32 v4, vcc, v1, v4, vcc
	global_load_dword v1, v[3:4], off
	s_waitcnt vmcnt(0)
	ds_write_b32 v7, v1
.LBB1_7:                                ;   in Loop: Header=BB1_5 Depth=1
	s_or_b64 exec, exec, s[26:27]
	v_sub_u32_e32 v1, s16, v11
	v_mad_u64_u32 v[3:4], s[26:27], v11, v1, 0
	v_ashrrev_i32_e32 v5, 31, v1
	s_not_b32 s31, s30
	v_mov_b32_e32 v1, v4
	v_mad_u64_u32 v[4:5], s[26:27], v11, v5, v[1:2]
	s_or_b64 s[26:27], s[12:13], s[2:3]
	s_movk_i32 s34, 0x1ff
	v_lshlrev_b64 v[3:4], 1, v[3:4]
	s_movk_i32 s35, 0xff8
	v_and_b32_e32 v1, -4, v3
	v_add_co_u32_e32 v3, vcc, s14, v1
	v_addc_co_u32_e32 v4, vcc, v10, v4, vcc
	s_xor_b64 s[26:27], s[26:27], -1
	v_mov_b32_e32 v1, v8
	s_waitcnt lgkmcnt(0)
	s_barrier
	s_branch .LBB1_9
.LBB1_8:                                ;   in Loop: Header=BB1_9 Depth=2
	s_or_b64 exec, exec, s[28:29]
	s_add_i32 s34, s34, -2
	s_add_i32 s35, s35, -8
	s_cmp_eq_u32 s42, 0
	v_add_u32_e32 v1, -2, v1
	s_cbranch_scc1 .LBB1_17
.LBB1_9:                                ;   Parent Loop BB1_5 Depth=1
                                        ; =>  This Inner Loop Header: Depth=2
	v_cmp_eq_u32_e32 vcc, 0, v1
	s_and_b64 s[42:43], vcc, s[26:27]
	s_and_saveexec_b64 s[28:29], s[42:43]
	s_cbranch_execz .LBB1_11
; %bb.10:                               ;   in Loop: Header=BB1_9 Depth=2
	global_load_dword v5, v[3:4], off
	ds_read_b32 v6, v7
	s_waitcnt vmcnt(0) lgkmcnt(0)
	v_div_scale_f32 v12, s[42:43], v5, v5, v6
	v_div_scale_f32 v13, vcc, v6, v5, v6
	v_rcp_f32_e32 v14, v12
	v_fma_f32 v15, -v12, v14, 1.0
	v_fmac_f32_e32 v14, v15, v14
	v_mul_f32_e32 v15, v13, v14
	v_fma_f32 v16, -v12, v15, v13
	v_fmac_f32_e32 v15, v16, v14
	v_fma_f32 v12, -v12, v15, v13
	v_div_fmas_f32 v12, v12, v14, v15
	v_div_fixup_f32 v5, v12, v5, v6
	ds_write_b32 v7, v5
.LBB1_11:                               ;   in Loop: Header=BB1_9 Depth=2
	s_or_b64 exec, exec, s[28:29]
	s_cmp_le_i32 s34, s31
	v_cmp_le_u32_e32 vcc, s34, v0
	s_cselect_b64 s[28:29], -1, 0
	s_or_b64 s[28:29], vcc, s[28:29]
	s_nor_b64 s[42:43], s[2:3], s[28:29]
	s_waitcnt lgkmcnt(0)
	s_barrier
	s_and_saveexec_b64 s[28:29], s[42:43]
	s_cbranch_execz .LBB1_13
; %bb.12:                               ;   in Loop: Header=BB1_9 Depth=2
	v_lshlrev_b64 v[5:6], 2, v[1:2]
	v_add_co_u32_e32 v5, vcc, v3, v5
	v_addc_co_u32_e32 v6, vcc, v4, v6, vcc
	global_load_dword v5, v[5:6], off
	v_mov_b32_e32 v6, s35
	ds_read_b32 v6, v6 offset:4
	ds_read_b32 v12, v7
	s_waitcnt vmcnt(0) lgkmcnt(0)
	v_fma_f32 v5, -v5, v6, v12
	ds_write_b32 v7, v5
.LBB1_13:                               ;   in Loop: Header=BB1_9 Depth=2
	s_or_b64 exec, exec, s[28:29]
	s_add_i32 s42, s34, -1
	v_cmp_eq_u32_e32 vcc, s42, v0
	s_and_b64 s[44:45], vcc, s[26:27]
	s_and_saveexec_b64 s[28:29], s[44:45]
	s_cbranch_execz .LBB1_15
; %bb.14:                               ;   in Loop: Header=BB1_9 Depth=2
	global_load_dword v5, v[3:4], off
	ds_read_b32 v6, v7
	s_waitcnt vmcnt(0) lgkmcnt(0)
	v_div_scale_f32 v12, s[44:45], v5, v5, v6
	v_div_scale_f32 v13, vcc, v6, v5, v6
	v_rcp_f32_e32 v14, v12
	v_fma_f32 v15, -v12, v14, 1.0
	v_fmac_f32_e32 v14, v15, v14
	v_mul_f32_e32 v15, v13, v14
	v_fma_f32 v16, -v12, v15, v13
	v_fmac_f32_e32 v15, v16, v14
	v_fma_f32 v12, -v12, v15, v13
	v_div_fmas_f32 v12, v12, v14, v15
	v_div_fixup_f32 v5, v12, v5, v6
	ds_write_b32 v7, v5
.LBB1_15:                               ;   in Loop: Header=BB1_9 Depth=2
	s_or_b64 exec, exec, s[28:29]
	s_cmp_le_i32 s42, s31
	v_cmp_le_u32_e32 vcc, s42, v0
	s_cselect_b64 s[28:29], -1, 0
	s_or_b64 s[28:29], vcc, s[28:29]
	s_nor_b64 s[44:45], s[2:3], s[28:29]
	s_waitcnt lgkmcnt(0)
	s_barrier
	s_and_saveexec_b64 s[28:29], s[44:45]
	s_cbranch_execz .LBB1_8
; %bb.16:                               ;   in Loop: Header=BB1_9 Depth=2
	v_add_u32_e32 v5, -1, v1
	v_mov_b32_e32 v6, v2
	v_lshlrev_b64 v[5:6], 2, v[5:6]
	v_add_co_u32_e32 v5, vcc, v3, v5
	v_addc_co_u32_e32 v6, vcc, v4, v6, vcc
	global_load_dword v5, v[5:6], off
	v_mov_b32_e32 v6, s35
	ds_read_b32 v6, v6
	ds_read_b32 v12, v7
	s_waitcnt vmcnt(0) lgkmcnt(0)
	v_fma_f32 v5, -v5, v6, v12
	ds_write_b32 v7, v5
	s_branch .LBB1_8
.LBB1_17:                               ;   in Loop: Header=BB1_5 Depth=1
	s_add_i32 s42, s30, 0xfffffe00
	s_cmp_lt_i32 s30, 1
	s_cselect_b64 s[2:3], -1, 0
	s_and_b64 vcc, exec, s[2:3]
	s_waitcnt lgkmcnt(0)
	s_barrier
	s_cbranch_vccnz .LBB1_41
; %bb.18:                               ;   in Loop: Header=BB1_5 Depth=1
	v_mad_i64_i32 v[3:4], s[26:27], v9, -4, s[4:5]
	v_ashrrev_i32_e32 v5, 31, v9
	v_mov_b32_e32 v6, s36
	v_sub_co_u32_e32 v1, vcc, s16, v9
	v_subb_co_u32_e32 v12, vcc, v6, v5, vcc
	s_mov_b64 s[26:27], 0
	v_mov_b32_e32 v13, v9
	v_mov_b32_e32 v14, v0
	s_mov_b32 s43, s42
                                        ; implicit-def: $sgpr28_sgpr29
	s_branch .LBB1_21
.LBB1_19:                               ;   in Loop: Header=BB1_21 Depth=2
	v_mad_u64_u32 v[5:6], s[34:35], s10, v16, 0
	s_add_i32 s44, s43, 0xfffffe00
	s_cmp_lt_i32 s43, 1
	v_mad_u64_u32 v[16:17], s[34:35], s11, v16, v[6:7]
	v_mov_b32_e32 v17, s54
	s_cselect_b64 s[34:35], -1, 0
	v_mov_b32_e32 v6, v16
	v_lshlrev_b64 v[5:6], 2, v[5:6]
	s_andn2_b64 s[28:29], s[28:29], exec
	v_add_co_u32_e32 v5, vcc, s33, v5
	v_addc_co_u32_e32 v6, vcc, v17, v6, vcc
	global_load_dword v16, v[5:6], off
	v_add_co_u32_e32 v3, vcc, s41, v3
	v_addc_co_u32_e32 v4, vcc, 0, v4, vcc
	v_add_co_u32_e32 v1, vcc, 0x200, v1
	s_and_b64 s[34:35], s[34:35], exec
	v_add_u32_e32 v14, 0xfffffe00, v14
	v_add_u32_e32 v13, 0xfffffe00, v13
	v_addc_co_u32_e32 v12, vcc, 0, v12, vcc
	s_or_b64 s[28:29], s[28:29], s[34:35]
	s_mov_b32 s43, s44
	s_waitcnt vmcnt(0)
	v_sub_f32_e32 v15, v16, v15
	global_store_dword v[5:6], v15, off
.LBB1_20:                               ;   in Loop: Header=BB1_21 Depth=2
	s_or_b64 exec, exec, s[30:31]
	s_and_b64 s[30:31], exec, s[28:29]
	s_or_b64 s[26:27], s[30:31], s[26:27]
	s_andn2_b64 exec, exec, s[26:27]
	s_cbranch_execz .LBB1_40
.LBB1_21:                               ;   Parent Loop BB1_5 Depth=1
                                        ; =>  This Loop Header: Depth=2
                                        ;       Child Loop BB1_24 Depth 3
	v_add_u32_e32 v16, s43, v0
	v_cmp_lt_i32_e32 vcc, -1, v16
	s_or_b64 s[28:29], s[28:29], exec
	s_and_saveexec_b64 s[30:31], vcc
	s_cbranch_execz .LBB1_20
; %bb.22:                               ;   in Loop: Header=BB1_21 Depth=2
	v_mad_u64_u32 v[5:6], s[34:35], v1, v13, 0
	v_mov_b32_e32 v15, 0
	s_movk_i32 s44, 0x800
	v_mad_u64_u32 v[17:18], s[34:35], v12, v13, v[6:7]
	s_movk_i32 s45, 0x200
	v_mov_b32_e32 v6, v17
	v_lshlrev_b64 v[5:6], 1, v[5:6]
	v_and_b32_e32 v5, -4, v5
	v_add_co_u32_e32 v5, vcc, v3, v5
	v_addc_co_u32_e32 v6, vcc, v4, v6, vcc
	s_branch .LBB1_24
.LBB1_23:                               ;   in Loop: Header=BB1_24 Depth=3
	s_or_b64 exec, exec, s[34:35]
	s_waitcnt lgkmcnt(0)
	v_add_f32_e32 v15, v15, v17
	v_add_f32_e32 v15, v15, v19
	;; [unrolled: 1-line block ×3, first 2 shown]
	s_add_i32 s44, s44, 16
	s_add_i32 s45, s45, -4
	v_add_co_u32_e32 v5, vcc, 16, v5
	v_add_f32_e32 v15, v15, v18
	s_cmp_eq_u32 s45, 0
	v_addc_co_u32_e32 v6, vcc, 0, v6, vcc
	s_cbranch_scc1 .LBB1_19
.LBB1_24:                               ;   Parent Loop BB1_5 Depth=1
                                        ;     Parent Loop BB1_21 Depth=2
                                        ; =>    This Inner Loop Header: Depth=3
	v_add_u32_e32 v18, s45, v14
	v_cmp_ne_u32_e32 vcc, s37, v18
	s_or_b64 s[34:35], s[8:9], vcc
                                        ; implicit-def: $vgpr17
	s_and_saveexec_b64 s[46:47], s[34:35]
	s_xor_b64 s[34:35], exec, s[46:47]
	s_cbranch_execz .LBB1_26
; %bb.25:                               ;   in Loop: Header=BB1_24 Depth=3
	global_load_dword v17, v[5:6], off
	v_mov_b32_e32 v19, s44
	ds_read_b32 v19, v19
	s_waitcnt vmcnt(0) lgkmcnt(0)
	v_mul_f32_e32 v17, v17, v19
.LBB1_26:                               ;   in Loop: Header=BB1_24 Depth=3
	s_andn2_saveexec_b64 s[34:35], s[34:35]
; %bb.27:                               ;   in Loop: Header=BB1_24 Depth=3
	v_mov_b32_e32 v17, s44
	ds_read_b32 v17, v17
; %bb.28:                               ;   in Loop: Header=BB1_24 Depth=3
	s_or_b64 exec, exec, s[34:35]
	v_cmp_ne_u32_e32 vcc, s38, v18
	s_or_b64 s[34:35], s[8:9], vcc
                                        ; implicit-def: $vgpr19
	s_and_saveexec_b64 s[46:47], s[34:35]
	s_xor_b64 s[34:35], exec, s[46:47]
	s_cbranch_execz .LBB1_30
; %bb.29:                               ;   in Loop: Header=BB1_24 Depth=3
	global_load_dword v19, v[5:6], off offset:4
	v_mov_b32_e32 v20, s44
	ds_read_b32 v20, v20 offset:4
	s_waitcnt vmcnt(0) lgkmcnt(0)
	v_mul_f32_e32 v19, v19, v20
.LBB1_30:                               ;   in Loop: Header=BB1_24 Depth=3
	s_andn2_saveexec_b64 s[34:35], s[34:35]
; %bb.31:                               ;   in Loop: Header=BB1_24 Depth=3
	v_mov_b32_e32 v19, s44
	ds_read_b32 v19, v19 offset:4
; %bb.32:                               ;   in Loop: Header=BB1_24 Depth=3
	s_or_b64 exec, exec, s[34:35]
	v_cmp_ne_u32_e32 vcc, s39, v18
	s_or_b64 s[34:35], s[8:9], vcc
                                        ; implicit-def: $vgpr20
	s_and_saveexec_b64 s[46:47], s[34:35]
	s_xor_b64 s[34:35], exec, s[46:47]
	s_cbranch_execz .LBB1_34
; %bb.33:                               ;   in Loop: Header=BB1_24 Depth=3
	global_load_dword v20, v[5:6], off offset:8
	v_mov_b32_e32 v21, s44
	ds_read_b32 v21, v21 offset:8
	s_waitcnt vmcnt(0) lgkmcnt(0)
	v_mul_f32_e32 v20, v20, v21
.LBB1_34:                               ;   in Loop: Header=BB1_24 Depth=3
	s_andn2_saveexec_b64 s[34:35], s[34:35]
; %bb.35:                               ;   in Loop: Header=BB1_24 Depth=3
	v_mov_b32_e32 v20, s44
	ds_read_b32 v20, v20 offset:8
; %bb.36:                               ;   in Loop: Header=BB1_24 Depth=3
	s_or_b64 exec, exec, s[34:35]
	v_cmp_ne_u32_e32 vcc, s40, v18
	s_or_b64 s[34:35], s[8:9], vcc
                                        ; implicit-def: $vgpr18
	s_and_saveexec_b64 s[46:47], s[34:35]
	s_xor_b64 s[34:35], exec, s[46:47]
	s_cbranch_execz .LBB1_38
; %bb.37:                               ;   in Loop: Header=BB1_24 Depth=3
	global_load_dword v18, v[5:6], off offset:12
	v_mov_b32_e32 v21, s44
	ds_read_b32 v21, v21 offset:12
	s_waitcnt vmcnt(0) lgkmcnt(0)
	v_mul_f32_e32 v18, v18, v21
.LBB1_38:                               ;   in Loop: Header=BB1_24 Depth=3
	s_andn2_saveexec_b64 s[34:35], s[34:35]
	s_cbranch_execz .LBB1_23
; %bb.39:                               ;   in Loop: Header=BB1_24 Depth=3
	v_mov_b32_e32 v18, s44
	ds_read_b32 v18, v18 offset:12
	s_branch .LBB1_23
.LBB1_40:                               ;   in Loop: Header=BB1_5 Depth=1
	s_or_b64 exec, exec, s[26:27]
.LBB1_41:                               ;   in Loop: Header=BB1_5 Depth=1
	s_and_saveexec_b64 s[26:27], s[0:1]
	s_cbranch_execz .LBB1_4
; %bb.42:                               ;   in Loop: Header=BB1_5 Depth=1
	v_mad_u64_u32 v[3:4], s[0:1], s10, v11, 0
	v_mov_b32_e32 v1, v4
	v_mad_u64_u32 v[4:5], s[0:1], s11, v11, v[1:2]
	ds_read_b32 v1, v7
	v_mov_b32_e32 v5, s54
	v_lshlrev_b64 v[3:4], 2, v[3:4]
	v_add_co_u32_e32 v3, vcc, s33, v3
	v_addc_co_u32_e32 v4, vcc, v5, v4, vcc
	s_waitcnt lgkmcnt(0)
	global_store_dword v[3:4], v1, off
	s_branch .LBB1_4
.LBB1_43:
	s_mov_b64 s[0:1], 0
.LBB1_44:
	s_andn2_b64 vcc, exec, s[0:1]
	s_cbranch_vccnz .LBB1_92
; %bb.45:
	s_andn2_b64 vcc, exec, s[6:7]
	s_cbranch_vccnz .LBB1_92
; %bb.46:
	v_mov_b32_e32 v2, 0
	v_mov_b32_e32 v1, v2
	v_mad_u64_u32 v[3:4], s[0:1], v0, v0, v[0:1]
	v_lshlrev_b32_e32 v1, 10, v0
	v_add_co_u32_e32 v7, vcc, 0x40200, v1
	v_or_b32_e32 v1, 0x200, v0
	v_mov_b32_e32 v6, v2
	v_lshlrev_b32_e32 v13, 2, v0
	v_addc_co_u32_e64 v8, s[0:1], 0, 0, vcc
	s_mov_b32 s16, 0
	v_add_u32_e32 v14, 0x201, v0
	v_mov_b32_e32 v15, s15
	s_xor_b64 s[8:9], s[12:13], -1
	v_mov_b32_e32 v5, v1
	s_mov_b64 s[26:27], s[14:15]
	s_branch .LBB1_48
.LBB1_47:                               ;   in Loop: Header=BB1_48 Depth=1
	s_or_b64 exec, exec, s[4:5]
	v_add_co_u32_e32 v9, vcc, 0x80000, v7
	v_addc_co_u32_e32 v10, vcc, 0, v8, vcc
	v_add_co_u32_e32 v3, vcc, v3, v7
	v_addc_co_u32_e32 v4, vcc, v4, v8, vcc
	v_add_co_u32_e32 v5, vcc, 0x200, v5
	s_add_u32 s26, s26, 0x800
	v_addc_co_u32_e32 v6, vcc, 0, v6, vcc
	v_mov_b32_e32 v7, v9
	s_addc_u32 s27, s27, 0
	v_add_u32_e32 v14, 0x200, v14
	s_and_b64 vcc, exec, s[2:3]
	v_mov_b32_e32 v8, v10
	s_mov_b32 s16, s36
	s_waitcnt vmcnt(0)
	s_barrier
	s_cbranch_vccnz .LBB1_92
.LBB1_48:                               ; =>This Loop Header: Depth=1
                                        ;     Child Loop BB1_52 Depth 2
                                        ;     Child Loop BB1_66 Depth 2
                                        ;       Child Loop BB1_69 Depth 3
	v_add_u32_e32 v16, s16, v0
	v_cmp_le_i32_e32 vcc, s17, v16
	v_cmp_gt_i32_e64 s[0:1], s17, v16
	s_and_saveexec_b64 s[4:5], s[0:1]
	s_cbranch_execz .LBB1_50
; %bb.49:                               ;   in Loop: Header=BB1_48 Depth=1
	v_mad_u64_u32 v[9:10], s[2:3], s10, v16, 0
	v_mov_b32_e32 v1, v10
	v_mad_u64_u32 v[10:11], s[2:3], s11, v16, v[1:2]
	v_mov_b32_e32 v1, s54
	v_lshlrev_b64 v[9:10], 2, v[9:10]
	v_add_co_u32_e64 v9, s[2:3], s33, v9
	v_addc_co_u32_e64 v10, s[2:3], v1, v10, s[2:3]
	global_load_dword v1, v[9:10], off
	s_waitcnt vmcnt(0)
	ds_write_b32 v13, v1
.LBB1_50:                               ;   in Loop: Header=BB1_48 Depth=1
	s_or_b64 exec, exec, s[4:5]
	v_lshlrev_b64 v[9:10], 1, v[3:4]
	v_mov_b32_e32 v1, s27
	v_and_b32_e32 v9, -4, v9
	v_add_co_u32_e64 v9, s[2:3], s26, v9
	v_addc_co_u32_e64 v10, s[2:3], v1, v10, s[2:3]
	v_or_b32_e32 v1, s16, v0
	v_add_u32_e32 v11, 1, v1
	v_mad_u64_u32 v[11:12], s[2:3], v11, v1, 0
	v_lshlrev_b64 v[17:18], 2, v[1:2]
	v_cmp_le_i32_e64 s[2:3], s17, v1
	v_lshlrev_b64 v[11:12], 1, v[11:12]
	v_add_co_u32_e64 v1, s[4:5], s14, v17
	v_addc_co_u32_e64 v17, s[4:5], v15, v18, s[4:5]
	v_and_b32_e32 v11, -4, v11
	v_add_co_u32_e64 v11, s[4:5], v1, v11
	v_addc_co_u32_e64 v12, s[4:5], v17, v12, s[4:5]
	s_mov_b32 s30, 0
	s_xor_b64 s[4:5], vcc, -1
	s_mov_b32 s31, 0
	s_waitcnt lgkmcnt(0)
	s_barrier
	s_branch .LBB1_52
.LBB1_51:                               ;   in Loop: Header=BB1_52 Depth=2
	s_or_b64 exec, exec, s[28:29]
	s_add_i32 s30, s30, 8
	s_add_i32 s31, s34, 1
	v_add_co_u32_e32 v9, vcc, 8, v9
	s_cmpk_eq_i32 s31, 0x200
	v_addc_co_u32_e32 v10, vcc, 0, v10, vcc
	s_cbranch_scc1 .LBB1_62
.LBB1_52:                               ;   Parent Loop BB1_48 Depth=1
                                        ; =>  This Inner Loop Header: Depth=2
	v_cmp_ne_u32_e32 vcc, s31, v0
	s_or_b64 s[28:29], s[12:13], vcc
	s_nor_b64 s[34:35], s[28:29], s[2:3]
	s_and_saveexec_b64 s[28:29], s[34:35]
	s_cbranch_execz .LBB1_54
; %bb.53:                               ;   in Loop: Header=BB1_52 Depth=2
	global_load_dword v1, v[11:12], off
	ds_read_b32 v17, v13
	s_waitcnt vmcnt(0) lgkmcnt(0)
	v_div_scale_f32 v18, s[34:35], v1, v1, v17
	v_div_scale_f32 v19, vcc, v17, v1, v17
	v_rcp_f32_e32 v20, v18
	v_fma_f32 v21, -v18, v20, 1.0
	v_fmac_f32_e32 v20, v21, v20
	v_mul_f32_e32 v21, v19, v20
	v_fma_f32 v22, -v18, v21, v19
	v_fmac_f32_e32 v21, v22, v20
	v_fma_f32 v18, -v18, v21, v19
	v_div_fmas_f32 v18, v18, v20, v21
	v_div_fixup_f32 v1, v18, v1, v17
	ds_write_b32 v13, v1
.LBB1_54:                               ;   in Loop: Header=BB1_52 Depth=2
	s_or_b64 exec, exec, s[28:29]
	v_cmp_lt_u32_e32 vcc, s31, v0
	s_waitcnt lgkmcnt(0)
	s_barrier
	s_and_saveexec_b64 s[28:29], vcc
	s_cbranch_execz .LBB1_57
; %bb.55:                               ;   in Loop: Header=BB1_52 Depth=2
	s_add_i32 s34, s16, s31
	s_cmp_lt_i32 s34, s17
	s_cselect_b64 s[34:35], -1, 0
	s_and_b64 s[34:35], s[4:5], s[34:35]
	s_and_b64 exec, exec, s[34:35]
	s_cbranch_execz .LBB1_57
; %bb.56:                               ;   in Loop: Header=BB1_52 Depth=2
	global_load_dword v1, v[9:10], off
	v_mov_b32_e32 v17, s30
	ds_read_b32 v17, v17
	ds_read_b32 v18, v13
	s_waitcnt vmcnt(0) lgkmcnt(0)
	v_fma_f32 v1, -v1, v17, v18
	ds_write_b32 v13, v1
.LBB1_57:                               ;   in Loop: Header=BB1_52 Depth=2
	s_or_b64 exec, exec, s[28:29]
	s_add_i32 s34, s31, 1
	v_cmp_ne_u32_e32 vcc, s34, v0
	s_or_b64 s[28:29], s[12:13], vcc
	s_nor_b64 s[36:37], s[28:29], s[2:3]
	s_and_saveexec_b64 s[28:29], s[36:37]
	s_cbranch_execz .LBB1_59
; %bb.58:                               ;   in Loop: Header=BB1_52 Depth=2
	global_load_dword v1, v[11:12], off
	ds_read_b32 v17, v13
	s_waitcnt vmcnt(0) lgkmcnt(0)
	v_div_scale_f32 v18, s[36:37], v1, v1, v17
	v_div_scale_f32 v19, vcc, v17, v1, v17
	v_rcp_f32_e32 v20, v18
	v_fma_f32 v21, -v18, v20, 1.0
	v_fmac_f32_e32 v20, v21, v20
	v_mul_f32_e32 v21, v19, v20
	v_fma_f32 v22, -v18, v21, v19
	v_fmac_f32_e32 v21, v22, v20
	v_fma_f32 v18, -v18, v21, v19
	v_div_fmas_f32 v18, v18, v20, v21
	v_div_fixup_f32 v1, v18, v1, v17
	ds_write_b32 v13, v1
.LBB1_59:                               ;   in Loop: Header=BB1_52 Depth=2
	s_or_b64 exec, exec, s[28:29]
	v_cmp_lt_u32_e32 vcc, s34, v0
	s_waitcnt lgkmcnt(0)
	s_barrier
	s_and_saveexec_b64 s[28:29], vcc
	s_cbranch_execz .LBB1_51
; %bb.60:                               ;   in Loop: Header=BB1_52 Depth=2
	s_add_i32 s31, s16, s31
	s_add_i32 s31, s31, 1
	s_cmp_lt_i32 s31, s17
	s_cselect_b64 s[36:37], -1, 0
	s_and_b64 s[36:37], s[4:5], s[36:37]
	s_and_b64 exec, exec, s[36:37]
	s_cbranch_execz .LBB1_51
; %bb.61:                               ;   in Loop: Header=BB1_52 Depth=2
	global_load_dword v1, v[9:10], off offset:4
	v_mov_b32_e32 v17, s30
	ds_read_b32 v17, v17 offset:4
	ds_read_b32 v18, v13
	s_waitcnt vmcnt(0) lgkmcnt(0)
	v_fma_f32 v1, -v1, v17, v18
	ds_write_b32 v13, v1
	s_branch .LBB1_51
.LBB1_62:                               ;   in Loop: Header=BB1_48 Depth=1
	s_add_i32 s36, s16, 0x200
	s_cmp_ge_i32 s36, s17
	s_cselect_b64 s[2:3], -1, 0
	s_and_b64 vcc, exec, s[2:3]
	s_waitcnt lgkmcnt(0)
	s_barrier
	s_cbranch_vccnz .LBB1_90
; %bb.63:                               ;   in Loop: Header=BB1_48 Depth=1
	v_mov_b32_e32 v10, v6
	s_mov_b64 s[4:5], 0
	v_mov_b32_e32 v1, v14
	v_mov_b32_e32 v9, v5
	;; [unrolled: 1-line block ×3, first 2 shown]
	s_mov_b32 s37, s36
                                        ; implicit-def: $sgpr28_sgpr29
	s_branch .LBB1_66
.LBB1_64:                               ;   in Loop: Header=BB1_66 Depth=2
	v_mad_u64_u32 v[11:12], s[34:35], s10, v18, 0
	s_addk_i32 s37, 0x200
	s_cmp_ge_i32 s37, s17
	v_mad_u64_u32 v[20:21], s[34:35], s11, v18, v[12:13]
	v_mov_b32_e32 v18, s54
	s_cselect_b64 s[34:35], -1, 0
	v_mov_b32_e32 v12, v20
	v_lshlrev_b64 v[11:12], 2, v[11:12]
	s_andn2_b64 s[28:29], s[28:29], exec
	v_add_co_u32_e32 v11, vcc, s33, v11
	v_addc_co_u32_e32 v12, vcc, v18, v12, vcc
	global_load_dword v18, v[11:12], off
	v_add_co_u32_e32 v9, vcc, 0x200, v9
	s_and_b64 s[34:35], s[34:35], exec
	v_add_u32_e32 v1, 0x200, v1
	v_addc_co_u32_e32 v10, vcc, 0, v10, vcc
	s_or_b64 s[28:29], s[28:29], s[34:35]
	s_waitcnt vmcnt(0)
	v_sub_f32_e32 v18, v18, v19
	global_store_dword v[11:12], v18, off
.LBB1_65:                               ;   in Loop: Header=BB1_66 Depth=2
	s_or_b64 exec, exec, s[30:31]
	s_and_b64 s[30:31], exec, s[28:29]
	s_or_b64 s[4:5], s[30:31], s[4:5]
	s_andn2_b64 exec, exec, s[4:5]
	s_cbranch_execz .LBB1_89
.LBB1_66:                               ;   Parent Loop BB1_48 Depth=1
                                        ; =>  This Loop Header: Depth=2
                                        ;       Child Loop BB1_69 Depth 3
	v_add_u32_e32 v18, s37, v0
	v_cmp_gt_i32_e32 vcc, s17, v18
	s_or_b64 s[28:29], s[28:29], exec
	s_and_saveexec_b64 s[30:31], vcc
	s_cbranch_execz .LBB1_65
; %bb.67:                               ;   in Loop: Header=BB1_66 Depth=2
	v_mad_u64_u32 v[11:12], s[34:35], v9, v1, 0
	v_mov_b32_e32 v21, s27
	v_add_u32_e32 v22, 0x1ff, v17
	v_mad_u64_u32 v[19:20], s[34:35], v10, v1, v[12:13]
	v_add_u32_e32 v20, 0x1fd, v17
	s_mov_b32 s38, 0
	v_mov_b32_e32 v12, v19
	v_lshlrev_b64 v[11:12], 1, v[11:12]
	v_mov_b32_e32 v19, 0
	v_and_b32_e32 v11, -4, v11
	v_add_co_u32_e32 v11, vcc, s26, v11
	v_addc_co_u32_e32 v12, vcc, v21, v12, vcc
	v_add_u32_e32 v21, 0x1fe, v17
	v_add_u32_e32 v17, 0x200, v17
	s_mov_b32 s39, 0
	s_branch .LBB1_69
.LBB1_68:                               ;   in Loop: Header=BB1_69 Depth=3
	s_or_b64 exec, exec, s[34:35]
	s_add_i32 s39, s39, 4
	s_add_i32 s38, s38, 16
	v_add_co_u32_e32 v11, vcc, 16, v11
	s_cmpk_eq_i32 s39, 0x200
	v_addc_co_u32_e32 v12, vcc, 0, v12, vcc
	s_cbranch_scc1 .LBB1_64
.LBB1_69:                               ;   Parent Loop BB1_48 Depth=1
                                        ;     Parent Loop BB1_66 Depth=2
                                        ; =>    This Inner Loop Header: Depth=3
	v_cmp_ne_u32_e32 vcc, s39, v17
	s_add_i32 s40, s16, s39
	s_or_b64 s[34:35], s[8:9], vcc
	s_and_saveexec_b64 s[42:43], s[34:35]
	s_xor_b64 s[34:35], exec, s[42:43]
	s_cbranch_execz .LBB1_72
; %bb.70:                               ;   in Loop: Header=BB1_69 Depth=3
	s_cmp_ge_i32 s40, s17
	s_cbranch_scc1 .LBB1_72
; %bb.71:                               ;   in Loop: Header=BB1_69 Depth=3
	global_load_dword v23, v[11:12], off
	v_mov_b32_e32 v24, s38
	ds_read_b32 v24, v24
	s_waitcnt vmcnt(0) lgkmcnt(0)
	v_fmac_f32_e32 v19, v23, v24
.LBB1_72:                               ;   in Loop: Header=BB1_69 Depth=3
	s_andn2_saveexec_b64 s[34:35], s[34:35]
	s_cbranch_execz .LBB1_74
; %bb.73:                               ;   in Loop: Header=BB1_69 Depth=3
	v_mov_b32_e32 v23, s38
	ds_read_b32 v23, v23
	s_waitcnt lgkmcnt(0)
	v_add_f32_e32 v19, v19, v23
.LBB1_74:                               ;   in Loop: Header=BB1_69 Depth=3
	s_or_b64 exec, exec, s[34:35]
	v_cmp_ne_u32_e32 vcc, s39, v22
	s_or_b64 s[34:35], s[8:9], vcc
	s_and_saveexec_b64 s[42:43], s[34:35]
	s_xor_b64 s[34:35], exec, s[42:43]
	s_cbranch_execz .LBB1_77
; %bb.75:                               ;   in Loop: Header=BB1_69 Depth=3
	s_add_i32 s41, s40, 1
	s_cmp_ge_i32 s41, s17
	s_cbranch_scc1 .LBB1_77
; %bb.76:                               ;   in Loop: Header=BB1_69 Depth=3
	global_load_dword v23, v[11:12], off offset:4
	v_mov_b32_e32 v24, s38
	ds_read_b32 v24, v24 offset:4
	s_waitcnt vmcnt(0) lgkmcnt(0)
	v_fmac_f32_e32 v19, v23, v24
.LBB1_77:                               ;   in Loop: Header=BB1_69 Depth=3
	s_andn2_saveexec_b64 s[34:35], s[34:35]
	s_cbranch_execz .LBB1_79
; %bb.78:                               ;   in Loop: Header=BB1_69 Depth=3
	v_mov_b32_e32 v23, s38
	ds_read_b32 v23, v23 offset:4
	s_waitcnt lgkmcnt(0)
	v_add_f32_e32 v19, v19, v23
.LBB1_79:                               ;   in Loop: Header=BB1_69 Depth=3
	s_or_b64 exec, exec, s[34:35]
	v_cmp_ne_u32_e32 vcc, s39, v21
	s_or_b64 s[34:35], s[8:9], vcc
	s_and_saveexec_b64 s[42:43], s[34:35]
	s_xor_b64 s[34:35], exec, s[42:43]
	s_cbranch_execz .LBB1_82
; %bb.80:                               ;   in Loop: Header=BB1_69 Depth=3
	s_add_i32 s41, s40, 2
	s_cmp_ge_i32 s41, s17
	s_cbranch_scc1 .LBB1_82
; %bb.81:                               ;   in Loop: Header=BB1_69 Depth=3
	global_load_dword v23, v[11:12], off offset:8
	v_mov_b32_e32 v24, s38
	ds_read_b32 v24, v24 offset:8
	s_waitcnt vmcnt(0) lgkmcnt(0)
	v_fmac_f32_e32 v19, v23, v24
.LBB1_82:                               ;   in Loop: Header=BB1_69 Depth=3
	s_andn2_saveexec_b64 s[34:35], s[34:35]
	s_cbranch_execz .LBB1_84
; %bb.83:                               ;   in Loop: Header=BB1_69 Depth=3
	v_mov_b32_e32 v23, s38
	ds_read_b32 v23, v23 offset:8
	s_waitcnt lgkmcnt(0)
	v_add_f32_e32 v19, v19, v23
.LBB1_84:                               ;   in Loop: Header=BB1_69 Depth=3
	s_or_b64 exec, exec, s[34:35]
	v_cmp_ne_u32_e32 vcc, s39, v20
	s_or_b64 s[34:35], s[8:9], vcc
	s_and_saveexec_b64 s[42:43], s[34:35]
	s_xor_b64 s[34:35], exec, s[42:43]
	s_cbranch_execz .LBB1_87
; %bb.85:                               ;   in Loop: Header=BB1_69 Depth=3
	s_add_i32 s40, s40, 3
	s_cmp_ge_i32 s40, s17
	s_cbranch_scc1 .LBB1_87
; %bb.86:                               ;   in Loop: Header=BB1_69 Depth=3
	global_load_dword v23, v[11:12], off offset:12
	v_mov_b32_e32 v24, s38
	ds_read_b32 v24, v24 offset:12
	s_waitcnt vmcnt(0) lgkmcnt(0)
	v_fmac_f32_e32 v19, v23, v24
.LBB1_87:                               ;   in Loop: Header=BB1_69 Depth=3
	s_andn2_saveexec_b64 s[34:35], s[34:35]
	s_cbranch_execz .LBB1_68
; %bb.88:                               ;   in Loop: Header=BB1_69 Depth=3
	v_mov_b32_e32 v23, s38
	ds_read_b32 v23, v23 offset:12
	s_waitcnt lgkmcnt(0)
	v_add_f32_e32 v19, v19, v23
	s_branch .LBB1_68
.LBB1_89:                               ;   in Loop: Header=BB1_48 Depth=1
	s_or_b64 exec, exec, s[4:5]
.LBB1_90:                               ;   in Loop: Header=BB1_48 Depth=1
	s_and_saveexec_b64 s[4:5], s[0:1]
	s_cbranch_execz .LBB1_47
; %bb.91:                               ;   in Loop: Header=BB1_48 Depth=1
	v_mad_u64_u32 v[9:10], s[0:1], s10, v16, 0
	v_mov_b32_e32 v1, v10
	v_mad_u64_u32 v[10:11], s[0:1], s11, v16, v[1:2]
	ds_read_b32 v1, v13
	v_mov_b32_e32 v11, s54
	v_lshlrev_b64 v[9:10], 2, v[9:10]
	v_add_co_u32_e32 v9, vcc, s33, v9
	v_addc_co_u32_e32 v10, vcc, v11, v10, vcc
	s_waitcnt lgkmcnt(0)
	global_store_dword v[9:10], v1, off
	s_branch .LBB1_47
.LBB1_92:
	s_mov_b64 s[0:1], 0
.LBB1_93:
	s_andn2_b64 vcc, exec, s[0:1]
	s_cbranch_vccnz .LBB1_180
; %bb.94:
	s_mov_b64 s[0:1], -1
	s_and_b64 vcc, exec, s[22:23]
	s_cbranch_vccz .LBB1_134
; %bb.95:
	s_andn2_b64 vcc, exec, s[6:7]
	s_cbranch_vccnz .LBB1_133
; %bb.96:
	s_lshl_b32 s8, s17, 1
	s_or_b32 s16, s8, 1
	s_add_u32 s0, s20, s24
	s_addc_u32 s1, s21, s25
	s_add_u32 s55, s18, s0
	s_addc_u32 s56, s19, s1
	s_ashr_i32 s9, s8, 31
	s_lshl_b64 s[0:1], s[8:9], 9
	s_add_u32 s28, s0, 0xfffbfe00
	s_addc_u32 s29, s1, -1
	s_lshl_b64 s[2:3], s[8:9], 1
	s_add_u32 s18, s2, -6
	s_addc_u32 s19, s3, -1
	s_add_u32 s26, s0, 0xfffc0200
	v_lshlrev_b32_e32 v16, 2, v0
	s_addc_u32 s27, s1, -1
	v_mov_b32_e32 v3, s56
	v_add_co_u32_e32 v2, vcc, s55, v16
	s_add_u32 s20, s2, -2
	v_addc_co_u32_e32 v3, vcc, 0, v3, vcc
	s_addc_u32 s21, s3, -1
	v_add_co_u32_e32 v4, vcc, -4, v2
	s_add_u32 s57, s55, -4
	v_mov_b32_e32 v1, 0
	v_addc_co_u32_e32 v5, vcc, -1, v3, vcc
	s_addc_u32 s58, s56, -1
	v_or_b32_e32 v17, 0x200, v0
	s_mov_b64 s[22:23], 0
	v_mov_b32_e32 v18, s15
	s_mov_b64 s[24:25], 0
	s_mov_b64 s[30:31], 0
	s_branch .LBB1_98
.LBB1_97:                               ;   in Loop: Header=BB1_98 Depth=1
	s_or_b64 exec, exec, s[30:31]
	s_add_u32 s0, s28, 0xfff80000
	s_addc_u32 s1, s29, -1
	s_add_u32 s8, s8, s28
	s_addc_u32 s9, s9, s29
	s_add_u32 s18, s18, 0xfffff800
	s_addc_u32 s19, s19, -1
	s_add_u32 s28, s26, 0xfff80000
	s_addc_u32 s29, s27, -1
	s_add_u32 s22, s22, s26
	s_addc_u32 s23, s23, s27
	s_add_u32 s20, s20, 0xfffff800
	s_addc_u32 s21, s21, -1
	s_add_u32 s24, s24, 0xfffffe00
	s_addc_u32 s25, s25, -1
	v_add_u32_e32 v17, 0x200, v17
	s_and_b64 vcc, exec, s[4:5]
	s_mov_b64 s[26:27], s[28:29]
	s_mov_b64 s[30:31], s[2:3]
	;; [unrolled: 1-line block ×3, first 2 shown]
	s_waitcnt vmcnt(0)
	s_barrier
	s_cbranch_vccnz .LBB1_133
.LBB1_98:                               ; =>This Loop Header: Depth=1
                                        ;     Child Loop BB1_102 Depth 2
                                        ;     Child Loop BB1_116 Depth 2
                                        ;       Child Loop BB1_118 Depth 3
	v_add_u32_e32 v19, s30, v0
	v_cmp_le_i32_e64 s[2:3], s17, v19
	v_cmp_gt_i32_e64 s[0:1], s17, v19
	s_and_saveexec_b64 s[4:5], s[0:1]
	s_cbranch_execz .LBB1_100
; %bb.99:                               ;   in Loop: Header=BB1_98 Depth=1
	v_mad_u64_u32 v[6:7], s[34:35], s10, v19, 0
	v_mad_u64_u32 v[7:8], s[34:35], s11, v19, v[7:8]
	v_mov_b32_e32 v8, s54
	v_lshlrev_b64 v[6:7], 2, v[6:7]
	v_add_co_u32_e32 v6, vcc, s33, v6
	v_addc_co_u32_e32 v7, vcc, v8, v7, vcc
	global_load_dword v6, v[6:7], off
	s_waitcnt vmcnt(0)
	ds_write_b32 v16, v6
.LBB1_100:                              ;   in Loop: Header=BB1_98 Depth=1
	s_or_b64 exec, exec, s[4:5]
	v_or_b32_e32 v9, s30, v0
	v_sub_u32_e32 v8, s16, v9
	v_mad_u64_u32 v[6:7], s[4:5], v8, v9, 0
	v_ashrrev_i32_e32 v8, 31, v8
	v_mov_b32_e32 v11, v5
	v_mad_u64_u32 v[7:8], s[4:5], v8, v9, v[7:8]
	v_cmp_le_i32_e64 s[4:5], s17, v9
	v_mov_b32_e32 v9, v3
	v_lshlrev_b64 v[6:7], 1, v[6:7]
	s_mov_b32 s46, 0
	v_and_b32_e32 v6, -4, v6
	v_add_co_u32_e32 v6, vcc, s14, v6
	v_addc_co_u32_e32 v7, vcc, v18, v7, vcc
	s_mov_b64 s[42:43], 0
	s_mov_b64 s[34:35], s[22:23]
	;; [unrolled: 1-line block ×3, first 2 shown]
	v_mov_b32_e32 v8, v2
	s_mov_b64 s[36:37], s[8:9]
	s_mov_b64 s[40:41], s[18:19]
	v_mov_b32_e32 v10, v4
	s_waitcnt lgkmcnt(0)
	s_barrier
	s_branch .LBB1_102
.LBB1_101:                              ;   in Loop: Header=BB1_102 Depth=2
	s_or_b64 exec, exec, s[44:45]
	s_add_i32 s46, s46, 8
	s_add_u32 s44, s40, -8
	s_addc_u32 s45, s41, -1
	s_add_u32 s36, s36, s40
	s_addc_u32 s37, s37, s41
	s_add_u32 s40, s38, -8
	s_addc_u32 s41, s39, -1
	s_add_u32 s34, s34, s38
	v_add_co_u32_e32 v10, vcc, -8, v10
	s_addc_u32 s35, s35, s39
	v_addc_co_u32_e32 v11, vcc, -1, v11, vcc
	s_add_u32 s42, s47, 1
	v_add_co_u32_e32 v8, vcc, -8, v8
	s_addc_u32 s43, s43, 0
	v_addc_co_u32_e32 v9, vcc, -1, v9, vcc
	s_cmpk_eq_i32 s42, 0x200
	s_mov_b64 s[38:39], s[40:41]
	s_mov_b64 s[40:41], s[44:45]
	s_cbranch_scc1 .LBB1_112
.LBB1_102:                              ;   Parent Loop BB1_98 Depth=1
                                        ; =>  This Inner Loop Header: Depth=2
	v_cmp_ne_u32_e32 vcc, s42, v0
	s_or_b64 s[44:45], s[12:13], vcc
	s_nor_b64 s[48:49], s[44:45], s[4:5]
	s_and_saveexec_b64 s[44:45], s[48:49]
	s_cbranch_execz .LBB1_104
; %bb.103:                              ;   in Loop: Header=BB1_102 Depth=2
	global_load_dword v12, v[6:7], off
	ds_read_b32 v13, v16
	s_waitcnt vmcnt(0) lgkmcnt(0)
	v_div_scale_f32 v14, s[48:49], v12, v12, v13
	v_div_scale_f32 v15, vcc, v13, v12, v13
	v_rcp_f32_e32 v20, v14
	v_fma_f32 v21, -v14, v20, 1.0
	v_fmac_f32_e32 v20, v21, v20
	v_mul_f32_e32 v21, v15, v20
	v_fma_f32 v22, -v14, v21, v15
	v_fmac_f32_e32 v21, v22, v20
	v_fma_f32 v14, -v14, v21, v15
	v_div_fmas_f32 v14, v14, v20, v21
	v_div_fixup_f32 v12, v14, v12, v13
	ds_write_b32 v16, v12
.LBB1_104:                              ;   in Loop: Header=BB1_102 Depth=2
	s_or_b64 exec, exec, s[44:45]
	v_cmp_lt_u32_e32 vcc, s42, v0
	s_waitcnt lgkmcnt(0)
	s_barrier
	s_and_saveexec_b64 s[44:45], vcc
	s_cbranch_execz .LBB1_107
; %bb.105:                              ;   in Loop: Header=BB1_102 Depth=2
	s_add_i32 s47, s30, s42
	s_cmp_lt_i32 s47, s17
	s_cselect_b64 s[48:49], -1, 0
	s_xor_b64 s[50:51], s[2:3], -1
	s_and_b64 s[48:49], s[50:51], s[48:49]
	s_and_b64 exec, exec, s[48:49]
	s_cbranch_execz .LBB1_107
; %bb.106:                              ;   in Loop: Header=BB1_102 Depth=2
	s_lshl_b64 s[48:49], s[34:35], 1
	s_and_b32 s47, s48, -4
	v_mov_b32_e32 v13, s49
	v_add_co_u32_e32 v12, vcc, s47, v8
	v_addc_co_u32_e32 v13, vcc, v9, v13, vcc
	global_load_dword v12, v[12:13], off
	v_mov_b32_e32 v13, s46
	ds_read_b32 v13, v13
	ds_read_b32 v14, v16
	s_waitcnt vmcnt(0) lgkmcnt(0)
	v_fma_f32 v12, -v12, v13, v14
	ds_write_b32 v16, v12
.LBB1_107:                              ;   in Loop: Header=BB1_102 Depth=2
	s_or_b64 exec, exec, s[44:45]
	s_add_u32 s47, s42, 1
	v_cmp_ne_u32_e32 vcc, s47, v0
	s_addc_u32 s43, s43, 0
	s_or_b64 s[44:45], s[12:13], vcc
	s_nor_b64 s[48:49], s[44:45], s[4:5]
	s_and_saveexec_b64 s[44:45], s[48:49]
	s_cbranch_execz .LBB1_109
; %bb.108:                              ;   in Loop: Header=BB1_102 Depth=2
	global_load_dword v12, v[6:7], off
	ds_read_b32 v13, v16
	s_waitcnt vmcnt(0) lgkmcnt(0)
	v_div_scale_f32 v14, s[48:49], v12, v12, v13
	v_div_scale_f32 v15, vcc, v13, v12, v13
	v_rcp_f32_e32 v20, v14
	v_fma_f32 v21, -v14, v20, 1.0
	v_fmac_f32_e32 v20, v21, v20
	v_mul_f32_e32 v21, v15, v20
	v_fma_f32 v22, -v14, v21, v15
	v_fmac_f32_e32 v21, v22, v20
	v_fma_f32 v14, -v14, v21, v15
	v_div_fmas_f32 v14, v14, v20, v21
	v_div_fixup_f32 v12, v14, v12, v13
	ds_write_b32 v16, v12
.LBB1_109:                              ;   in Loop: Header=BB1_102 Depth=2
	s_or_b64 exec, exec, s[44:45]
	v_cmp_lt_u32_e32 vcc, s47, v0
	s_waitcnt lgkmcnt(0)
	s_barrier
	s_and_saveexec_b64 s[44:45], vcc
	s_cbranch_execz .LBB1_101
; %bb.110:                              ;   in Loop: Header=BB1_102 Depth=2
	s_add_i32 s42, s30, s42
	s_add_i32 s42, s42, 1
	s_cmp_lt_i32 s42, s17
	s_cselect_b64 s[48:49], -1, 0
	s_xor_b64 s[50:51], s[2:3], -1
	s_and_b64 s[48:49], s[50:51], s[48:49]
	s_and_b64 exec, exec, s[48:49]
	s_cbranch_execz .LBB1_101
; %bb.111:                              ;   in Loop: Header=BB1_102 Depth=2
	s_lshl_b64 s[48:49], s[36:37], 1
	s_and_b32 s42, s48, -4
	v_mov_b32_e32 v13, s49
	v_add_co_u32_e32 v12, vcc, s42, v10
	v_addc_co_u32_e32 v13, vcc, v11, v13, vcc
	global_load_dword v12, v[12:13], off
	v_mov_b32_e32 v13, s46
	ds_read_b32 v13, v13 offset:4
	ds_read_b32 v14, v16
	s_waitcnt vmcnt(0) lgkmcnt(0)
	v_fma_f32 v12, -v12, v13, v14
	ds_write_b32 v16, v12
	s_branch .LBB1_101
.LBB1_112:                              ;   in Loop: Header=BB1_98 Depth=1
	s_add_u32 s2, s30, 0x200
	s_addc_u32 s3, s31, 0
	s_cmp_ge_i32 s2, s17
	s_cselect_b64 s[4:5], -1, 0
	s_and_b64 vcc, exec, s[4:5]
	s_waitcnt lgkmcnt(0)
	s_barrier
	s_cbranch_vccnz .LBB1_131
; %bb.113:                              ;   in Loop: Header=BB1_98 Depth=1
	v_ashrrev_i32_e32 v7, 31, v17
	v_mov_b32_e32 v8, s25
	v_add_co_u32_e32 v6, vcc, s24, v17
	v_addc_co_u32_e32 v7, vcc, v8, v7, vcc
	v_lshlrev_b64 v[8:9], 2, v[6:7]
	v_mov_b32_e32 v7, s58
	v_add_co_u32_e32 v6, vcc, s57, v8
	v_addc_co_u32_e32 v7, vcc, v7, v9, vcc
	v_mov_b32_e32 v10, s56
	v_add_co_u32_e32 v8, vcc, s55, v8
	v_addc_co_u32_e32 v9, vcc, v10, v9, vcc
	v_mov_b32_e32 v11, v1
	s_mov_b32 s31, s2
	s_mov_b64 s[34:35], 0
	v_mov_b32_e32 v10, v0
                                        ; implicit-def: $sgpr36_sgpr37
	s_branch .LBB1_116
.LBB1_114:                              ;   in Loop: Header=BB1_116 Depth=2
	v_mad_u64_u32 v[12:13], s[40:41], s10, v21, 0
	s_addk_i32 s31, 0x200
	s_cmp_ge_i32 s31, s17
	v_mad_u64_u32 v[13:14], s[40:41], s11, v21, v[13:14]
	v_mov_b32_e32 v14, s54
	s_cselect_b64 s[40:41], -1, 0
	v_lshlrev_b64 v[12:13], 2, v[12:13]
	s_andn2_b64 s[36:37], s[36:37], exec
	v_add_co_u32_e32 v12, vcc, s33, v12
	v_addc_co_u32_e32 v13, vcc, v14, v13, vcc
	global_load_dword v14, v[12:13], off
	v_add_co_u32_e32 v6, vcc, 0x800, v6
	v_addc_co_u32_e32 v7, vcc, 0, v7, vcc
	v_add_co_u32_e32 v8, vcc, 0x800, v8
	s_and_b64 s[40:41], s[40:41], exec
	v_addc_co_u32_e32 v9, vcc, 0, v9, vcc
	s_or_b64 s[36:37], s[36:37], s[40:41]
	s_waitcnt vmcnt(0)
	v_sub_f32_e32 v14, v14, v20
	global_store_dword v[12:13], v14, off
.LBB1_115:                              ;   in Loop: Header=BB1_116 Depth=2
	s_or_b64 exec, exec, s[38:39]
	s_and_b64 s[38:39], exec, s[36:37]
	s_or_b64 s[34:35], s[38:39], s[34:35]
	s_andn2_b64 exec, exec, s[34:35]
	s_cbranch_execz .LBB1_130
.LBB1_116:                              ;   Parent Loop BB1_98 Depth=1
                                        ; =>  This Loop Header: Depth=2
                                        ;       Child Loop BB1_118 Depth 3
	v_add_u32_e32 v21, s31, v0
	v_cmp_gt_i32_e32 vcc, s17, v21
	s_or_b64 s[36:37], s[36:37], exec
	s_and_saveexec_b64 s[38:39], vcc
	s_cbranch_execz .LBB1_115
; %bb.117:                              ;   in Loop: Header=BB1_116 Depth=2
	v_add_co_u32_e32 v22, vcc, 0x1ff, v10
	v_add_co_u32_e32 v10, vcc, 0x200, v10
	v_mov_b32_e32 v13, v9
	v_mov_b32_e32 v15, v7
	v_addc_co_u32_e32 v11, vcc, 0, v11, vcc
	v_mov_b32_e32 v20, 0
	s_mov_b64 s[40:41], 0
	s_mov_b32 s59, 0
	s_mov_b64 s[42:43], s[22:23]
	s_mov_b64 s[46:47], s[20:21]
	v_mov_b32_e32 v12, v8
	s_mov_b64 s[44:45], s[8:9]
	s_mov_b64 s[48:49], s[18:19]
	v_mov_b32_e32 v14, v6
.LBB1_118:                              ;   Parent Loop BB1_98 Depth=1
                                        ;     Parent Loop BB1_116 Depth=2
                                        ; =>    This Inner Loop Header: Depth=3
	v_cmp_ne_u32_e32 vcc, s40, v10
	s_xor_b64 s[50:51], s[12:13], -1
	s_add_u32 s60, s30, s40
	s_or_b64 s[52:53], s[50:51], vcc
	s_and_saveexec_b64 s[62:63], s[52:53]
	s_xor_b64 s[52:53], exec, s[62:63]
	s_cbranch_execz .LBB1_121
; %bb.119:                              ;   in Loop: Header=BB1_118 Depth=3
	s_cmp_ge_i32 s60, s17
	s_cbranch_scc1 .LBB1_121
; %bb.120:                              ;   in Loop: Header=BB1_118 Depth=3
	s_lshl_b64 s[62:63], s[42:43], 1
	s_and_b32 s61, s62, -4
	v_mov_b32_e32 v24, s63
	v_add_co_u32_e32 v23, vcc, s61, v12
	v_addc_co_u32_e32 v24, vcc, v13, v24, vcc
	global_load_dword v23, v[23:24], off
	v_mov_b32_e32 v24, s59
	ds_read_b32 v24, v24
	s_waitcnt vmcnt(0) lgkmcnt(0)
	v_fmac_f32_e32 v20, v23, v24
.LBB1_121:                              ;   in Loop: Header=BB1_118 Depth=3
	s_andn2_saveexec_b64 s[52:53], s[52:53]
	s_cbranch_execz .LBB1_123
; %bb.122:                              ;   in Loop: Header=BB1_118 Depth=3
	v_mov_b32_e32 v23, s59
	ds_read_b32 v23, v23
	s_waitcnt lgkmcnt(0)
	v_add_f32_e32 v20, v20, v23
.LBB1_123:                              ;   in Loop: Header=BB1_118 Depth=3
	s_or_b64 exec, exec, s[52:53]
	v_cmp_ne_u32_e32 vcc, s40, v22
	s_or_b64 s[50:51], s[50:51], vcc
	s_and_saveexec_b64 s[52:53], s[50:51]
	s_xor_b64 s[50:51], exec, s[52:53]
	s_cbranch_execz .LBB1_126
; %bb.124:                              ;   in Loop: Header=BB1_118 Depth=3
	s_add_i32 s60, s60, 1
	s_cmp_ge_i32 s60, s17
	s_cbranch_scc1 .LBB1_126
; %bb.125:                              ;   in Loop: Header=BB1_118 Depth=3
	s_lshl_b64 s[52:53], s[44:45], 1
	s_and_b32 s52, s52, -4
	v_mov_b32_e32 v24, s53
	v_add_co_u32_e32 v23, vcc, s52, v14
	v_addc_co_u32_e32 v24, vcc, v15, v24, vcc
	global_load_dword v23, v[23:24], off
	v_mov_b32_e32 v24, s59
	ds_read_b32 v24, v24 offset:4
	s_waitcnt vmcnt(0) lgkmcnt(0)
	v_fmac_f32_e32 v20, v23, v24
.LBB1_126:                              ;   in Loop: Header=BB1_118 Depth=3
	s_andn2_saveexec_b64 s[50:51], s[50:51]
	s_cbranch_execz .LBB1_128
; %bb.127:                              ;   in Loop: Header=BB1_118 Depth=3
	v_mov_b32_e32 v23, s59
	ds_read_b32 v23, v23 offset:4
	s_waitcnt lgkmcnt(0)
	v_add_f32_e32 v20, v20, v23
.LBB1_128:                              ;   in Loop: Header=BB1_118 Depth=3
	s_or_b64 exec, exec, s[50:51]
	s_add_u32 s40, s40, 2
	s_addc_u32 s41, s41, 0
	s_add_i32 s59, s59, 8
	s_add_u32 s50, s48, -8
	s_addc_u32 s51, s49, -1
	s_add_u32 s44, s44, s48
	s_addc_u32 s45, s45, s49
	s_add_u32 s48, s46, -8
	v_add_co_u32_e32 v14, vcc, -8, v14
	s_addc_u32 s49, s47, -1
	v_addc_co_u32_e32 v15, vcc, -1, v15, vcc
	s_add_u32 s42, s42, s46
	s_addc_u32 s43, s43, s47
	v_add_co_u32_e32 v12, vcc, -8, v12
	s_cmpk_eq_i32 s40, 0x200
	v_addc_co_u32_e32 v13, vcc, -1, v13, vcc
	s_cbranch_scc1 .LBB1_114
; %bb.129:                              ;   in Loop: Header=BB1_118 Depth=3
	s_mov_b64 s[46:47], s[48:49]
	s_mov_b64 s[48:49], s[50:51]
	s_branch .LBB1_118
.LBB1_130:                              ;   in Loop: Header=BB1_98 Depth=1
	s_or_b64 exec, exec, s[34:35]
.LBB1_131:                              ;   in Loop: Header=BB1_98 Depth=1
	s_and_saveexec_b64 s[30:31], s[0:1]
	s_cbranch_execz .LBB1_97
; %bb.132:                              ;   in Loop: Header=BB1_98 Depth=1
	v_mad_u64_u32 v[6:7], s[0:1], s10, v19, 0
	v_mov_b32_e32 v9, s54
	v_mad_u64_u32 v[7:8], s[0:1], s11, v19, v[7:8]
	ds_read_b32 v8, v16
	v_lshlrev_b64 v[6:7], 2, v[6:7]
	v_add_co_u32_e32 v6, vcc, s33, v6
	v_addc_co_u32_e32 v7, vcc, v9, v7, vcc
	s_waitcnt lgkmcnt(0)
	global_store_dword v[6:7], v8, off
	s_branch .LBB1_97
.LBB1_133:
	s_mov_b64 s[0:1], 0
.LBB1_134:
	s_andn2_b64 vcc, exec, s[0:1]
	s_cbranch_vccnz .LBB1_180
; %bb.135:
	s_andn2_b64 vcc, exec, s[6:7]
	s_cbranch_vccnz .LBB1_180
; %bb.136:
	v_mov_b32_e32 v1, 0x800
	v_mov_b32_e32 v3, 0
	s_add_i32 s28, s17, 0xfffffe00
	v_lshl_or_b32 v12, v0, 2, v1
	v_add_u32_e32 v13, 0xfffffe01, v0
	s_mov_b32 s26, 0
	s_mov_b32 s27, s17
	v_mov_b32_e32 v1, v3
	v_mov_b32_e32 v14, s15
	s_xor_b64 s[4:5], s[12:13], -1
	s_branch .LBB1_138
.LBB1_137:                              ;   in Loop: Header=BB1_138 Depth=1
	s_or_b64 exec, exec, s[6:7]
	s_add_u32 s27, s27, 0xfffffe00
	s_addc_u32 s26, s26, -1
	s_and_b64 vcc, exec, s[2:3]
	s_mov_b32 s28, s29
	s_waitcnt vmcnt(0)
	s_barrier
	s_cbranch_vccnz .LBB1_180
.LBB1_138:                              ; =>This Loop Header: Depth=1
                                        ;     Child Loop BB1_143 Depth 2
                                        ;     Child Loop BB1_158 Depth 2
                                        ;       Child Loop BB1_161 Depth 3
	v_add_u32_e32 v4, s28, v0
	v_cmp_gt_i32_e32 vcc, 0, v4
	v_cmp_lt_i32_e64 s[0:1], -1, v4
	v_mov_b32_e32 v5, v3
	s_and_saveexec_b64 s[6:7], s[0:1]
	s_cbranch_execz .LBB1_140
; %bb.139:                              ;   in Loop: Header=BB1_138 Depth=1
	v_mad_u64_u32 v[6:7], s[2:3], s10, v4, 0
	v_mov_b32_e32 v2, v7
	v_mad_u64_u32 v[7:8], s[2:3], s11, v4, v[2:3]
	v_mov_b32_e32 v2, s54
	v_lshlrev_b64 v[6:7], 2, v[6:7]
	v_add_co_u32_e64 v6, s[2:3], s33, v6
	v_addc_co_u32_e64 v7, s[2:3], v2, v7, s[2:3]
	global_load_dword v2, v[6:7], off
	s_waitcnt vmcnt(0)
	ds_write_b32 v12, v2
.LBB1_140:                              ;   in Loop: Header=BB1_138 Depth=1
	s_or_b64 exec, exec, s[6:7]
	v_add_u32_e32 v2, 1, v4
	v_mad_u64_u32 v[8:9], s[2:3], v4, v2, 0
	v_lshlrev_b64 v[10:11], 2, v[4:5]
	v_ashrrev_i32_e32 v7, 31, v4
	v_mov_b32_e32 v6, v4
	v_add_co_u32_e64 v10, s[2:3], s14, v10
	v_lshlrev_b64 v[5:6], 2, v[6:7]
	v_addc_co_u32_e64 v11, s[2:3], v14, v11, s[2:3]
	v_lshlrev_b64 v[8:9], 1, v[8:9]
	v_add_co_u32_e64 v2, s[2:3], s14, v5
	v_addc_co_u32_e64 v7, s[2:3], v14, v6, s[2:3]
	v_and_b32_e32 v5, -4, v8
	v_add_co_u32_e64 v5, s[2:3], v10, v5
	v_addc_co_u32_e64 v6, s[2:3], v11, v9, s[2:3]
	s_or_b64 s[2:3], s[12:13], vcc
	s_movk_i32 s16, 0x1ff
	s_movk_i32 s17, 0xff8
	v_mov_b32_e32 v9, s27
	s_xor_b64 s[6:7], s[2:3], -1
	v_mov_b32_e32 v8, v13
	s_waitcnt lgkmcnt(0)
	s_barrier
	s_branch .LBB1_143
.LBB1_141:                              ;   in Loop: Header=BB1_143 Depth=2
	s_or_b64 exec, exec, s[8:9]
	v_mov_b32_e32 v9, v11
.LBB1_142:                              ;   in Loop: Header=BB1_143 Depth=2
	s_or_b64 exec, exec, s[2:3]
	s_add_i32 s16, s16, -2
	s_add_i32 s17, s17, -8
	s_cmp_eq_u32 s18, 0
	v_add_u32_e32 v8, 2, v8
	s_cbranch_scc1 .LBB1_154
.LBB1_143:                              ;   Parent Loop BB1_138 Depth=1
                                        ; =>  This Inner Loop Header: Depth=2
	v_cmp_eq_u32_e32 vcc, 0, v8
	s_and_b64 s[8:9], vcc, s[6:7]
	s_and_saveexec_b64 s[2:3], s[8:9]
	s_cbranch_execz .LBB1_145
; %bb.144:                              ;   in Loop: Header=BB1_143 Depth=2
	global_load_dword v10, v[5:6], off
	ds_read_b32 v11, v12
	s_waitcnt vmcnt(0) lgkmcnt(0)
	v_div_scale_f32 v15, s[8:9], v10, v10, v11
	v_div_scale_f32 v16, vcc, v11, v10, v11
	v_rcp_f32_e32 v17, v15
	v_fma_f32 v18, -v15, v17, 1.0
	v_fmac_f32_e32 v17, v18, v17
	v_mul_f32_e32 v18, v16, v17
	v_fma_f32 v19, -v15, v18, v16
	v_fmac_f32_e32 v18, v19, v17
	v_fma_f32 v15, -v15, v18, v16
	v_div_fmas_f32 v15, v15, v17, v18
	v_div_fixup_f32 v10, v15, v10, v11
	ds_write_b32 v12, v10
.LBB1_145:                              ;   in Loop: Header=BB1_143 Depth=2
	s_or_b64 exec, exec, s[2:3]
	v_add_u32_e32 v10, -1, v9
	v_or_b32_e32 v11, v4, v10
	v_cmp_gt_u32_e32 vcc, s16, v0
	v_cmp_lt_i32_e64 s[2:3], -1, v11
	s_and_b64 s[8:9], vcc, s[2:3]
	s_waitcnt lgkmcnt(0)
	s_barrier
	s_and_saveexec_b64 s[2:3], s[8:9]
	s_cbranch_execz .LBB1_147
; %bb.146:                              ;   in Loop: Header=BB1_143 Depth=2
	v_mad_u64_u32 v[15:16], s[8:9], v9, v10, 0
	v_lshlrev_b64 v[15:16], 1, v[15:16]
	v_and_b32_e32 v11, -4, v15
	v_add_co_u32_e32 v15, vcc, v2, v11
	v_addc_co_u32_e32 v16, vcc, v7, v16, vcc
	global_load_dword v11, v[15:16], off
	v_mov_b32_e32 v15, s17
	ds_read_b32 v15, v15 offset:4
	ds_read_b32 v16, v12
	s_waitcnt vmcnt(0) lgkmcnt(0)
	v_fma_f32 v11, -v11, v15, v16
	ds_write_b32 v12, v11
.LBB1_147:                              ;   in Loop: Header=BB1_143 Depth=2
	s_or_b64 exec, exec, s[2:3]
	s_add_i32 s18, s16, -1
	v_cmp_eq_u32_e32 vcc, s18, v0
	s_and_b64 s[8:9], vcc, s[6:7]
	s_and_saveexec_b64 s[2:3], s[8:9]
	s_cbranch_execz .LBB1_149
; %bb.148:                              ;   in Loop: Header=BB1_143 Depth=2
	global_load_dword v11, v[5:6], off
	ds_read_b32 v15, v12
	s_waitcnt vmcnt(0) lgkmcnt(0)
	v_div_scale_f32 v16, s[8:9], v11, v11, v15
	v_div_scale_f32 v17, vcc, v15, v11, v15
	v_rcp_f32_e32 v18, v16
	v_fma_f32 v19, -v16, v18, 1.0
	v_fmac_f32_e32 v18, v19, v18
	v_mul_f32_e32 v19, v17, v18
	v_fma_f32 v20, -v16, v19, v17
	v_fmac_f32_e32 v19, v20, v18
	v_fma_f32 v16, -v16, v19, v17
	v_div_fmas_f32 v16, v16, v18, v19
	v_div_fixup_f32 v11, v16, v11, v15
	ds_write_b32 v12, v11
.LBB1_149:                              ;   in Loop: Header=BB1_143 Depth=2
	s_or_b64 exec, exec, s[2:3]
	v_cmp_le_u32_e32 vcc, s18, v0
	v_add_u32_e32 v11, -2, v9
	s_waitcnt lgkmcnt(0)
	s_barrier
	s_and_saveexec_b64 s[2:3], vcc
	s_xor_b64 s[2:3], exec, s[2:3]
; %bb.150:                              ;   in Loop: Header=BB1_143 Depth=2
	v_add_u32_e32 v9, -2, v9
                                        ; implicit-def: $vgpr11
                                        ; implicit-def: $vgpr10
; %bb.151:                              ;   in Loop: Header=BB1_143 Depth=2
	s_andn2_saveexec_b64 s[2:3], s[2:3]
	s_cbranch_execz .LBB1_142
; %bb.152:                              ;   in Loop: Header=BB1_143 Depth=2
	v_or_b32_e32 v9, v4, v11
	v_cmp_lt_i32_e32 vcc, -1, v9
	s_and_saveexec_b64 s[8:9], vcc
	s_cbranch_execz .LBB1_141
; %bb.153:                              ;   in Loop: Header=BB1_143 Depth=2
	v_mad_u64_u32 v[9:10], s[20:21], v10, v11, 0
	v_lshlrev_b64 v[9:10], 1, v[9:10]
	v_and_b32_e32 v9, -4, v9
	v_add_co_u32_e32 v9, vcc, v2, v9
	v_addc_co_u32_e32 v10, vcc, v7, v10, vcc
	global_load_dword v9, v[9:10], off
	v_mov_b32_e32 v10, s17
	ds_read_b32 v10, v10
	ds_read_b32 v15, v12
	s_waitcnt vmcnt(0) lgkmcnt(0)
	v_fma_f32 v9, -v9, v10, v15
	ds_write_b32 v12, v9
	s_branch .LBB1_141
.LBB1_154:                              ;   in Loop: Header=BB1_138 Depth=1
	s_add_i32 s29, s28, 0xfffffe00
	s_cmp_lt_i32 s28, 1
	s_cselect_b64 s[2:3], -1, 0
	s_and_b64 vcc, exec, s[2:3]
	s_waitcnt lgkmcnt(0)
	s_barrier
	s_cbranch_vccnz .LBB1_178
; %bb.155:                              ;   in Loop: Header=BB1_138 Depth=1
	v_mov_b32_e32 v6, v1
	s_mov_b64 s[6:7], 0
	v_mov_b32_e32 v5, v0
	s_mov_b32 s30, s29
                                        ; implicit-def: $sgpr8_sgpr9
	s_branch .LBB1_158
.LBB1_156:                              ;   in Loop: Header=BB1_158 Depth=2
	v_mad_u64_u32 v[7:8], s[18:19], s10, v2, 0
	s_add_i32 s20, s30, 0xfffffe00
	s_cmp_lt_i32 s30, 1
	v_mad_u64_u32 v[8:9], s[18:19], s11, v2, v[8:9]
	v_mov_b32_e32 v2, s54
	s_cselect_b64 s[18:19], -1, 0
	v_lshlrev_b64 v[7:8], 2, v[7:8]
	s_andn2_b64 s[8:9], s[8:9], exec
	v_add_co_u32_e32 v7, vcc, s33, v7
	v_addc_co_u32_e32 v8, vcc, v2, v8, vcc
	global_load_dword v2, v[7:8], off
	v_add_co_u32_e32 v5, vcc, 0xfffffe00, v5
	s_and_b64 s[18:19], s[18:19], exec
	v_addc_co_u32_e32 v6, vcc, -1, v6, vcc
	s_or_b64 s[8:9], s[8:9], s[18:19]
	s_mov_b32 s30, s20
	s_waitcnt vmcnt(0)
	v_sub_f32_e32 v2, v2, v15
	global_store_dword v[7:8], v2, off
.LBB1_157:                              ;   in Loop: Header=BB1_158 Depth=2
	s_or_b64 exec, exec, s[16:17]
	s_and_b64 s[16:17], exec, s[8:9]
	s_or_b64 s[6:7], s[16:17], s[6:7]
	s_andn2_b64 exec, exec, s[6:7]
	s_cbranch_execz .LBB1_177
.LBB1_158:                              ;   Parent Loop BB1_138 Depth=1
                                        ; =>  This Loop Header: Depth=2
                                        ;       Child Loop BB1_161 Depth 3
	v_add_u32_e32 v2, s30, v0
	v_cmp_lt_i32_e32 vcc, -1, v2
	s_or_b64 s[8:9], s[8:9], exec
	s_and_saveexec_b64 s[16:17], vcc
	s_cbranch_execz .LBB1_157
; %bb.159:                              ;   in Loop: Header=BB1_158 Depth=2
	v_lshlrev_b64 v[7:8], 2, v[2:3]
	v_mov_b32_e32 v9, s15
	v_add_co_u32_e32 v16, vcc, s14, v7
	v_addc_co_u32_e32 v17, vcc, v9, v8, vcc
	v_add_co_u32_e32 v18, vcc, 0xfffffdfd, v5
	v_add_co_u32_e32 v19, vcc, 0xfffffdfe, v5
	;; [unrolled: 1-line block ×4, first 2 shown]
	v_mov_b32_e32 v15, 0
	s_movk_i32 s31, 0x800
	s_mov_b64 s[18:19], 0
	s_branch .LBB1_161
.LBB1_160:                              ;   in Loop: Header=BB1_161 Depth=3
	s_or_b64 exec, exec, s[20:21]
	s_waitcnt lgkmcnt(0)
	v_add_f32_e32 v7, v15, v22
	s_add_i32 s31, s31, 16
	v_add_f32_e32 v7, v7, v11
	s_add_u32 s18, s18, 4
	v_add_f32_e32 v7, v7, v23
	s_addc_u32 s19, s19, 0
	s_cmpk_eq_i32 s18, 0x200
	v_add_f32_e32 v15, v7, v8
	s_cbranch_scc1 .LBB1_156
.LBB1_161:                              ;   Parent Loop BB1_138 Depth=1
                                        ;     Parent Loop BB1_158 Depth=2
                                        ; =>    This Inner Loop Header: Depth=3
	v_cmp_ne_u32_e32 vcc, s18, v21
	s_or_b64 s[24:25], s[4:5], vcc
                                        ; implicit-def: $vgpr22
                                        ; implicit-def: $sgpr20_sgpr21
                                        ; implicit-def: $sgpr22_sgpr23
	s_and_saveexec_b64 s[34:35], s[24:25]
	s_xor_b64 s[24:25], exec, s[34:35]
	s_cbranch_execz .LBB1_163
; %bb.162:                              ;   in Loop: Header=BB1_161 Depth=3
	s_add_u32 s20, s27, s18
	s_addc_u32 s21, s26, s19
	s_add_u32 s22, s20, 0xfffffe01
	s_addc_u32 s23, s21, 0
	;; [unrolled: 2-line block ×3, first 2 shown]
	s_mul_i32 s35, s22, s35
	s_mul_hi_u32 s36, s22, s34
	s_add_i32 s35, s36, s35
	s_mul_i32 s34, s22, s34
	s_lshl_b64 s[34:35], s[34:35], 1
	s_and_b32 s34, s34, -4
	v_mov_b32_e32 v8, s35
	v_add_co_u32_e32 v7, vcc, s34, v16
	v_addc_co_u32_e32 v8, vcc, v17, v8, vcc
	global_load_dword v7, v[7:8], off
	v_mov_b32_e32 v8, s31
	ds_read_b32 v8, v8
	s_waitcnt vmcnt(0) lgkmcnt(0)
	v_mul_f32_e32 v22, v7, v8
.LBB1_163:                              ;   in Loop: Header=BB1_161 Depth=3
	s_or_saveexec_b64 s[24:25], s[24:25]
	v_mov_b32_e32 v10, s22
	v_mov_b32_e32 v7, s20
	;; [unrolled: 1-line block ×4, first 2 shown]
	s_xor_b64 exec, exec, s[24:25]
	s_cbranch_execz .LBB1_165
; %bb.164:                              ;   in Loop: Header=BB1_161 Depth=3
	v_mov_b32_e32 v7, s31
	ds_read_b32 v22, v7
	s_add_u32 s20, s27, s18
	s_addc_u32 s21, s26, s19
	s_add_u32 s22, s20, 0xfffffe01
	s_addc_u32 s23, s21, 0
	v_mov_b32_e32 v10, s22
	v_mov_b32_e32 v7, s20
	;; [unrolled: 1-line block ×4, first 2 shown]
.LBB1_165:                              ;   in Loop: Header=BB1_161 Depth=3
	s_or_b64 exec, exec, s[24:25]
	v_cmp_ne_u32_e32 vcc, s18, v20
	s_or_b64 s[20:21], s[4:5], vcc
                                        ; implicit-def: $vgpr11
                                        ; implicit-def: $vgpr8_vgpr9
	s_and_saveexec_b64 s[22:23], s[20:21]
	s_xor_b64 s[20:21], exec, s[22:23]
	s_cbranch_execz .LBB1_167
; %bb.166:                              ;   in Loop: Header=BB1_161 Depth=3
	v_add_co_u32_e32 v8, vcc, 0xfffffe02, v7
	v_mad_u64_u32 v[9:10], s[22:23], v8, v10, 0
	v_lshlrev_b64 v[9:10], 1, v[9:10]
	v_and_b32_e32 v9, -4, v9
	v_add_co_u32_e32 v9, vcc, v16, v9
	v_addc_co_u32_e32 v10, vcc, v17, v10, vcc
	global_load_dword v9, v[9:10], off
	v_mov_b32_e32 v10, s31
	ds_read_b32 v10, v10 offset:4
	s_waitcnt vmcnt(0) lgkmcnt(0)
	v_mul_f32_e32 v11, v9, v10
.LBB1_167:                              ;   in Loop: Header=BB1_161 Depth=3
	s_andn2_saveexec_b64 s[20:21], s[20:21]
; %bb.168:                              ;   in Loop: Header=BB1_161 Depth=3
	v_mov_b32_e32 v8, s31
	ds_read_b32 v11, v8 offset:4
	v_add_co_u32_e32 v8, vcc, 0xfffffe02, v7
; %bb.169:                              ;   in Loop: Header=BB1_161 Depth=3
	s_or_b64 exec, exec, s[20:21]
	v_cmp_ne_u32_e32 vcc, s18, v19
	s_or_b64 s[20:21], s[4:5], vcc
                                        ; implicit-def: $vgpr23
                                        ; implicit-def: $vgpr9_vgpr10
	s_and_saveexec_b64 s[22:23], s[20:21]
	s_xor_b64 s[20:21], exec, s[22:23]
	s_cbranch_execz .LBB1_171
; %bb.170:                              ;   in Loop: Header=BB1_161 Depth=3
	v_add_co_u32_e32 v9, vcc, 0xfffffe03, v7
	v_mad_u64_u32 v[23:24], s[22:23], v9, v8, 0
	v_mov_b32_e32 v10, s31
	ds_read_b32 v10, v10 offset:8
	v_lshlrev_b64 v[23:24], 1, v[23:24]
	v_and_b32_e32 v8, -4, v23
	v_add_co_u32_e32 v23, vcc, v16, v8
	v_addc_co_u32_e32 v24, vcc, v17, v24, vcc
	global_load_dword v8, v[23:24], off
	s_waitcnt vmcnt(0) lgkmcnt(0)
	v_mul_f32_e32 v23, v8, v10
.LBB1_171:                              ;   in Loop: Header=BB1_161 Depth=3
	s_andn2_saveexec_b64 s[20:21], s[20:21]
; %bb.172:                              ;   in Loop: Header=BB1_161 Depth=3
	v_mov_b32_e32 v8, s31
	ds_read_b32 v23, v8 offset:8
	v_add_co_u32_e32 v9, vcc, 0xfffffe03, v7
; %bb.173:                              ;   in Loop: Header=BB1_161 Depth=3
	s_or_b64 exec, exec, s[20:21]
	v_cmp_ne_u32_e32 vcc, s18, v18
	s_or_b64 s[20:21], s[4:5], vcc
                                        ; implicit-def: $vgpr8
	s_and_saveexec_b64 s[22:23], s[20:21]
	s_xor_b64 s[20:21], exec, s[22:23]
	s_cbranch_execz .LBB1_175
; %bb.174:                              ;   in Loop: Header=BB1_161 Depth=3
	v_add_u32_e32 v7, 0xfffffe04, v7
	v_mad_u64_u32 v[7:8], s[22:23], v7, v9, 0
	v_lshlrev_b64 v[7:8], 1, v[7:8]
	v_and_b32_e32 v7, -4, v7
	v_add_co_u32_e32 v7, vcc, v16, v7
	v_addc_co_u32_e32 v8, vcc, v17, v8, vcc
	global_load_dword v7, v[7:8], off
	v_mov_b32_e32 v8, s31
	ds_read_b32 v8, v8 offset:12
	s_waitcnt vmcnt(0) lgkmcnt(0)
	v_mul_f32_e32 v8, v7, v8
.LBB1_175:                              ;   in Loop: Header=BB1_161 Depth=3
	s_andn2_saveexec_b64 s[20:21], s[20:21]
	s_cbranch_execz .LBB1_160
; %bb.176:                              ;   in Loop: Header=BB1_161 Depth=3
	v_mov_b32_e32 v7, s31
	ds_read_b32 v8, v7 offset:12
	s_branch .LBB1_160
.LBB1_177:                              ;   in Loop: Header=BB1_138 Depth=1
	s_or_b64 exec, exec, s[6:7]
.LBB1_178:                              ;   in Loop: Header=BB1_138 Depth=1
	s_and_saveexec_b64 s[6:7], s[0:1]
	s_cbranch_execz .LBB1_137
; %bb.179:                              ;   in Loop: Header=BB1_138 Depth=1
	v_mad_u64_u32 v[5:6], s[0:1], s10, v4, 0
	v_mov_b32_e32 v2, v6
	v_mad_u64_u32 v[6:7], s[0:1], s11, v4, v[2:3]
	ds_read_b32 v2, v12
	v_mov_b32_e32 v7, s54
	v_lshlrev_b64 v[4:5], 2, v[5:6]
	v_add_co_u32_e32 v4, vcc, s33, v4
	v_addc_co_u32_e32 v5, vcc, v7, v5, vcc
	s_waitcnt lgkmcnt(0)
	global_store_dword v[4:5], v2, off
	s_branch .LBB1_137
.LBB1_180:
	s_endpgm
	.section	.rodata,"a",@progbits
	.p2align	6, 0x0
	.amdhsa_kernel _ZL19rocblas_tpsv_kernelILb0ELi512EPKfPfEv18rocblas_operation_bbiT1_llT2_lll
		.amdhsa_group_segment_fixed_size 4096
		.amdhsa_private_segment_fixed_size 0
		.amdhsa_kernarg_size 72
		.amdhsa_user_sgpr_count 6
		.amdhsa_user_sgpr_private_segment_buffer 1
		.amdhsa_user_sgpr_dispatch_ptr 0
		.amdhsa_user_sgpr_queue_ptr 0
		.amdhsa_user_sgpr_kernarg_segment_ptr 1
		.amdhsa_user_sgpr_dispatch_id 0
		.amdhsa_user_sgpr_flat_scratch_init 0
		.amdhsa_user_sgpr_private_segment_size 0
		.amdhsa_uses_dynamic_stack 0
		.amdhsa_system_sgpr_private_segment_wavefront_offset 0
		.amdhsa_system_sgpr_workgroup_id_x 1
		.amdhsa_system_sgpr_workgroup_id_y 0
		.amdhsa_system_sgpr_workgroup_id_z 0
		.amdhsa_system_sgpr_workgroup_info 0
		.amdhsa_system_vgpr_workitem_id 0
		.amdhsa_next_free_vgpr 25
		.amdhsa_next_free_sgpr 64
		.amdhsa_reserve_vcc 1
		.amdhsa_reserve_flat_scratch 0
		.amdhsa_float_round_mode_32 0
		.amdhsa_float_round_mode_16_64 0
		.amdhsa_float_denorm_mode_32 3
		.amdhsa_float_denorm_mode_16_64 3
		.amdhsa_dx10_clamp 1
		.amdhsa_ieee_mode 1
		.amdhsa_fp16_overflow 0
		.amdhsa_exception_fp_ieee_invalid_op 0
		.amdhsa_exception_fp_denorm_src 0
		.amdhsa_exception_fp_ieee_div_zero 0
		.amdhsa_exception_fp_ieee_overflow 0
		.amdhsa_exception_fp_ieee_underflow 0
		.amdhsa_exception_fp_ieee_inexact 0
		.amdhsa_exception_int_div_zero 0
	.end_amdhsa_kernel
	.section	.text._ZL19rocblas_tpsv_kernelILb0ELi512EPKfPfEv18rocblas_operation_bbiT1_llT2_lll,"axG",@progbits,_ZL19rocblas_tpsv_kernelILb0ELi512EPKfPfEv18rocblas_operation_bbiT1_llT2_lll,comdat
.Lfunc_end1:
	.size	_ZL19rocblas_tpsv_kernelILb0ELi512EPKfPfEv18rocblas_operation_bbiT1_llT2_lll, .Lfunc_end1-_ZL19rocblas_tpsv_kernelILb0ELi512EPKfPfEv18rocblas_operation_bbiT1_llT2_lll
                                        ; -- End function
	.set _ZL19rocblas_tpsv_kernelILb0ELi512EPKfPfEv18rocblas_operation_bbiT1_llT2_lll.num_vgpr, 25
	.set _ZL19rocblas_tpsv_kernelILb0ELi512EPKfPfEv18rocblas_operation_bbiT1_llT2_lll.num_agpr, 0
	.set _ZL19rocblas_tpsv_kernelILb0ELi512EPKfPfEv18rocblas_operation_bbiT1_llT2_lll.numbered_sgpr, 64
	.set _ZL19rocblas_tpsv_kernelILb0ELi512EPKfPfEv18rocblas_operation_bbiT1_llT2_lll.num_named_barrier, 0
	.set _ZL19rocblas_tpsv_kernelILb0ELi512EPKfPfEv18rocblas_operation_bbiT1_llT2_lll.private_seg_size, 0
	.set _ZL19rocblas_tpsv_kernelILb0ELi512EPKfPfEv18rocblas_operation_bbiT1_llT2_lll.uses_vcc, 1
	.set _ZL19rocblas_tpsv_kernelILb0ELi512EPKfPfEv18rocblas_operation_bbiT1_llT2_lll.uses_flat_scratch, 0
	.set _ZL19rocblas_tpsv_kernelILb0ELi512EPKfPfEv18rocblas_operation_bbiT1_llT2_lll.has_dyn_sized_stack, 0
	.set _ZL19rocblas_tpsv_kernelILb0ELi512EPKfPfEv18rocblas_operation_bbiT1_llT2_lll.has_recursion, 0
	.set _ZL19rocblas_tpsv_kernelILb0ELi512EPKfPfEv18rocblas_operation_bbiT1_llT2_lll.has_indirect_call, 0
	.section	.AMDGPU.csdata,"",@progbits
; Kernel info:
; codeLenInByte = 6964
; TotalNumSgprs: 68
; NumVgprs: 25
; ScratchSize: 0
; MemoryBound: 0
; FloatMode: 240
; IeeeMode: 1
; LDSByteSize: 4096 bytes/workgroup (compile time only)
; SGPRBlocks: 8
; VGPRBlocks: 6
; NumSGPRsForWavesPerEU: 68
; NumVGPRsForWavesPerEU: 25
; Occupancy: 9
; WaveLimiterHint : 0
; COMPUTE_PGM_RSRC2:SCRATCH_EN: 0
; COMPUTE_PGM_RSRC2:USER_SGPR: 6
; COMPUTE_PGM_RSRC2:TRAP_HANDLER: 0
; COMPUTE_PGM_RSRC2:TGID_X_EN: 1
; COMPUTE_PGM_RSRC2:TGID_Y_EN: 0
; COMPUTE_PGM_RSRC2:TGID_Z_EN: 0
; COMPUTE_PGM_RSRC2:TIDIG_COMP_CNT: 0
	.section	.text._ZL19rocblas_tpsv_kernelILb1ELi512EPKdPdEv18rocblas_operation_bbiT1_llT2_lll,"axG",@progbits,_ZL19rocblas_tpsv_kernelILb1ELi512EPKdPdEv18rocblas_operation_bbiT1_llT2_lll,comdat
	.globl	_ZL19rocblas_tpsv_kernelILb1ELi512EPKdPdEv18rocblas_operation_bbiT1_llT2_lll ; -- Begin function _ZL19rocblas_tpsv_kernelILb1ELi512EPKdPdEv18rocblas_operation_bbiT1_llT2_lll
	.p2align	8
	.type	_ZL19rocblas_tpsv_kernelILb1ELi512EPKdPdEv18rocblas_operation_bbiT1_llT2_lll,@function
_ZL19rocblas_tpsv_kernelILb1ELi512EPKdPdEv18rocblas_operation_bbiT1_llT2_lll: ; @_ZL19rocblas_tpsv_kernelILb1ELi512EPKdPdEv18rocblas_operation_bbiT1_llT2_lll
; %bb.0:
	s_load_dwordx2 s[26:27], s[4:5], 0x0
	s_load_dwordx2 s[16:17], s[4:5], 0x4
	;; [unrolled: 1-line block ×3, first 2 shown]
	s_load_dwordx4 s[0:3], s[4:5], 0x18
	s_load_dwordx2 s[28:29], s[4:5], 0x28
	s_waitcnt lgkmcnt(0)
	s_bitcmp1_b32 s27, 0
	s_cselect_b64 s[8:9], -1, 0
	s_xor_b64 s[22:23], s[8:9], -1
	s_bitcmp1_b32 s16, 8
	s_load_dwordx4 s[8:11], s[4:5], 0x30
	s_load_dwordx2 s[30:31], s[4:5], 0x40
	s_mul_i32 s3, s3, s6
	s_mul_hi_u32 s4, s2, s6
	s_cselect_b64 s[12:13], -1, 0
	s_add_i32 s3, s4, s3
	s_mul_i32 s2, s2, s6
	s_lshl_b64 s[20:21], s[2:3], 3
	s_add_u32 s2, s18, s20
	s_addc_u32 s3, s19, s21
	s_lshl_b64 s[24:25], s[0:1], 3
	s_add_u32 s14, s2, s24
	s_waitcnt lgkmcnt(0)
	s_mul_i32 s0, s31, s6
	s_mul_hi_u32 s1, s30, s6
	s_addc_u32 s15, s3, s25
	s_add_i32 s1, s1, s0
	s_mul_i32 s0, s30, s6
	s_lshl_b64 s[0:1], s[0:1], 3
	s_add_u32 s2, s28, s0
	s_addc_u32 s3, s29, s1
	s_lshl_b64 s[0:1], s[8:9], 3
	s_add_u32 s33, s2, s0
	s_addc_u32 s56, s3, s1
	s_cmp_gt_i32 s17, 0
	s_cselect_b64 s[6:7], -1, 0
	s_cmpk_lg_i32 s26, 0x6f
	s_mov_b64 s[0:1], -1
	s_cbranch_scc0 .LBB2_93
; %bb.1:
	s_and_b64 vcc, exec, s[22:23]
	s_cbranch_vccz .LBB2_44
; %bb.2:
	s_andn2_b64 vcc, exec, s[6:7]
	s_cbranch_vccnz .LBB2_43
; %bb.3:
	s_lshl_b32 s2, s17, 1
	s_add_i32 s28, s17, 0xfffffe00
	s_or_b32 s16, s2, 1
	s_add_u32 s3, s20, s24
	v_lshlrev_b32_e32 v1, 3, v0
	s_addc_u32 s4, s21, s25
	v_or_b32_e32 v15, 0x3000, v1
	v_mov_b32_e32 v2, s4
	v_sub_co_u32_e32 v1, vcc, s3, v1
	v_subbrev_co_u32_e32 v2, vcc, 0, v2, vcc
	v_mov_b32_e32 v3, s19
	v_add_co_u32_e32 v1, vcc, s18, v1
	v_addc_co_u32_e32 v2, vcc, v3, v2, vcc
	s_movk_i32 s0, 0xff0
	v_add_co_u32_e32 v16, vcc, s0, v1
	s_ashr_i32 s1, s17, 31
	s_mov_b32 s0, s17
	s_lshl_b64 s[0:1], s[0:1], 3
	s_add_u32 s0, s3, s0
	s_addc_u32 s1, s4, s1
	s_add_u32 s0, s18, s0
	v_sub_u32_e32 v1, s17, v0
	s_addc_u32 s1, s19, s1
	v_add_u32_e32 v18, 0x201, v1
	v_add_u32_e32 v1, s17, v0
	s_add_u32 s4, s0, 0xfffff000
	v_addc_co_u32_e32 v17, vcc, 0, v2, vcc
	v_add_u32_e32 v19, 0xfffffe00, v1
	s_addc_u32 s5, s1, -1
	v_add_u32_e32 v20, 0xfffffc00, v1
	s_ashr_i32 s36, s2, 31
	v_mov_b32_e32 v21, s15
	s_movk_i32 s37, 0x400
	s_movk_i32 s38, 0x401
	;; [unrolled: 1-line block ×5, first 2 shown]
	s_branch .LBB2_5
.LBB2_4:                                ;   in Loop: Header=BB2_5 Depth=1
	s_or_b64 exec, exec, s[8:9]
	s_add_u32 s4, s4, 0xfffff000
	v_add_u32_e32 v18, 0x200, v18
	v_add_u32_e32 v19, 0xfffffe00, v19
	s_addc_u32 s5, s5, -1
	v_add_u32_e32 v20, 0xfffffe00, v20
	s_andn2_b64 vcc, exec, s[2:3]
	s_mov_b32 s28, s42
	s_waitcnt vmcnt(0)
	s_barrier
	s_cbranch_vccz .LBB2_43
.LBB2_5:                                ; =>This Loop Header: Depth=1
                                        ;     Child Loop BB2_9 Depth 2
                                        ;     Child Loop BB2_21 Depth 2
                                        ;       Child Loop BB2_24 Depth 3
	v_add_u32_e32 v22, s28, v0
	v_cmp_gt_i32_e32 vcc, 0, v22
	v_cmp_lt_i32_e64 s[0:1], -1, v22
	s_and_saveexec_b64 s[8:9], s[0:1]
	s_cbranch_execz .LBB2_7
; %bb.6:                                ;   in Loop: Header=BB2_5 Depth=1
	v_mad_u64_u32 v[1:2], s[2:3], s10, v22, 0
	v_mad_u64_u32 v[2:3], s[2:3], s11, v22, v[2:3]
	v_mov_b32_e32 v3, s56
	v_lshlrev_b64 v[1:2], 3, v[1:2]
	v_add_co_u32_e64 v1, s[2:3], s33, v1
	v_addc_co_u32_e64 v2, s[2:3], v3, v2, s[2:3]
	global_load_dwordx2 v[1:2], v[1:2], off
	s_waitcnt vmcnt(0)
	ds_write_b64 v15, v[1:2]
.LBB2_7:                                ;   in Loop: Header=BB2_5 Depth=1
	s_or_b64 exec, exec, s[8:9]
	v_mad_u64_u32 v[1:2], s[2:3], v18, v19, 0
	v_ashrrev_i32_e32 v3, 31, v18
	v_sub_u32_e32 v5, s16, v22
	v_mad_u64_u32 v[2:3], s[2:3], v3, v19, v[2:3]
	v_mad_u64_u32 v[3:4], s[2:3], v5, v22, 0
	v_lshlrev_b64 v[1:2], 2, v[1:2]
	v_ashrrev_i32_e32 v5, 31, v5
	v_and_b32_e32 v1, -8, v1
	v_add_co_u32_e64 v1, s[2:3], v16, v1
	v_addc_co_u32_e64 v2, s[2:3], v17, v2, s[2:3]
	v_mad_u64_u32 v[4:5], s[2:3], v5, v22, v[4:5]
	s_not_b32 s2, s28
	v_max_i32_e32 v5, s2, v0
	v_lshlrev_b64 v[3:4], 2, v[3:4]
	s_movk_i32 s29, 0x1ff
	v_and_b32_e32 v3, -8, v3
	v_add_co_u32_e64 v3, s[2:3], s14, v3
	v_addc_co_u32_e64 v4, s[2:3], v21, v4, s[2:3]
	s_or_b64 s[2:3], vcc, s[12:13]
	s_movk_i32 s30, 0x3ff0
	s_xor_b64 s[2:3], s[2:3], -1
	s_xor_b64 s[8:9], vcc, -1
	v_add_u32_e32 v6, 0xfffffe01, v0
	s_waitcnt lgkmcnt(0)
	s_barrier
	s_branch .LBB2_9
.LBB2_8:                                ;   in Loop: Header=BB2_9 Depth=2
	s_or_b64 exec, exec, s[26:27]
	s_add_i32 s29, s29, -2
	v_add_co_u32_e32 v1, vcc, -16, v1
	s_add_i32 s30, s30, -16
	v_addc_co_u32_e32 v2, vcc, -1, v2, vcc
	s_cmp_eq_u32 s31, 0
	v_add_u32_e32 v6, 2, v6
	s_cbranch_scc1 .LBB2_17
.LBB2_9:                                ;   Parent Loop BB2_5 Depth=1
                                        ; =>  This Inner Loop Header: Depth=2
	v_cmp_eq_u32_e32 vcc, 0, v6
	s_and_b64 s[34:35], vcc, s[2:3]
	s_and_saveexec_b64 s[26:27], s[34:35]
	s_cbranch_execz .LBB2_11
; %bb.10:                               ;   in Loop: Header=BB2_9 Depth=2
	global_load_dwordx2 v[7:8], v[3:4], off
	ds_read_b64 v[9:10], v15
	s_waitcnt vmcnt(0) lgkmcnt(0)
	v_div_scale_f64 v[11:12], s[34:35], v[7:8], v[7:8], v[9:10]
	v_div_scale_f64 v[25:26], vcc, v[9:10], v[7:8], v[9:10]
	v_rcp_f64_e32 v[13:14], v[11:12]
	v_fma_f64 v[23:24], -v[11:12], v[13:14], 1.0
	v_fma_f64 v[13:14], v[13:14], v[23:24], v[13:14]
	v_fma_f64 v[23:24], -v[11:12], v[13:14], 1.0
	v_fma_f64 v[13:14], v[13:14], v[23:24], v[13:14]
	v_mul_f64 v[23:24], v[25:26], v[13:14]
	v_fma_f64 v[11:12], -v[11:12], v[23:24], v[25:26]
	v_div_fmas_f64 v[11:12], v[11:12], v[13:14], v[23:24]
	v_div_fixup_f64 v[7:8], v[11:12], v[7:8], v[9:10]
	ds_write_b64 v15, v[7:8]
.LBB2_11:                               ;   in Loop: Header=BB2_9 Depth=2
	s_or_b64 exec, exec, s[26:27]
	v_cmp_gt_u32_e32 vcc, s29, v5
	s_and_b64 s[34:35], s[8:9], vcc
	s_waitcnt lgkmcnt(0)
	s_barrier
	s_and_saveexec_b64 s[26:27], s[34:35]
	s_cbranch_execz .LBB2_13
; %bb.12:                               ;   in Loop: Header=BB2_9 Depth=2
	global_load_dwordx2 v[7:8], v[1:2], off offset:8
	v_mov_b32_e32 v9, s30
	ds_read_b64 v[9:10], v9 offset:8
	ds_read_b64 v[11:12], v15
	s_waitcnt vmcnt(0) lgkmcnt(0)
	v_fma_f64 v[7:8], -v[7:8], v[9:10], v[11:12]
	ds_write_b64 v15, v[7:8]
.LBB2_13:                               ;   in Loop: Header=BB2_9 Depth=2
	s_or_b64 exec, exec, s[26:27]
	s_add_i32 s31, s29, -1
	v_cmp_eq_u32_e32 vcc, s31, v0
	s_and_b64 s[34:35], vcc, s[2:3]
	s_and_saveexec_b64 s[26:27], s[34:35]
	s_cbranch_execz .LBB2_15
; %bb.14:                               ;   in Loop: Header=BB2_9 Depth=2
	global_load_dwordx2 v[7:8], v[3:4], off
	ds_read_b64 v[9:10], v15
	s_waitcnt vmcnt(0) lgkmcnt(0)
	v_div_scale_f64 v[11:12], s[34:35], v[7:8], v[7:8], v[9:10]
	v_div_scale_f64 v[25:26], vcc, v[9:10], v[7:8], v[9:10]
	v_rcp_f64_e32 v[13:14], v[11:12]
	v_fma_f64 v[23:24], -v[11:12], v[13:14], 1.0
	v_fma_f64 v[13:14], v[13:14], v[23:24], v[13:14]
	v_fma_f64 v[23:24], -v[11:12], v[13:14], 1.0
	v_fma_f64 v[13:14], v[13:14], v[23:24], v[13:14]
	v_mul_f64 v[23:24], v[25:26], v[13:14]
	v_fma_f64 v[11:12], -v[11:12], v[23:24], v[25:26]
	v_div_fmas_f64 v[11:12], v[11:12], v[13:14], v[23:24]
	v_div_fixup_f64 v[7:8], v[11:12], v[7:8], v[9:10]
	ds_write_b64 v15, v[7:8]
.LBB2_15:                               ;   in Loop: Header=BB2_9 Depth=2
	s_or_b64 exec, exec, s[26:27]
	v_cmp_gt_u32_e32 vcc, s31, v5
	s_and_b64 s[34:35], s[8:9], vcc
	s_waitcnt lgkmcnt(0)
	s_barrier
	s_and_saveexec_b64 s[26:27], s[34:35]
	s_cbranch_execz .LBB2_8
; %bb.16:                               ;   in Loop: Header=BB2_9 Depth=2
	global_load_dwordx2 v[7:8], v[1:2], off
	v_mov_b32_e32 v9, s30
	ds_read_b64 v[9:10], v9
	ds_read_b64 v[11:12], v15
	s_waitcnt vmcnt(0) lgkmcnt(0)
	v_fma_f64 v[7:8], -v[7:8], v[9:10], v[11:12]
	ds_write_b64 v15, v[7:8]
	s_branch .LBB2_8
.LBB2_17:                               ;   in Loop: Header=BB2_5 Depth=1
	s_add_i32 s42, s28, 0xfffffe00
	s_cmp_lt_i32 s28, 1
	s_cselect_b64 s[2:3], -1, 0
	s_and_b64 vcc, exec, s[2:3]
	s_waitcnt lgkmcnt(0)
	s_barrier
	s_cbranch_vccnz .LBB2_41
; %bb.18:                               ;   in Loop: Header=BB2_5 Depth=1
	v_mad_i64_i32 v[1:2], s[8:9], v20, -8, s[4:5]
	v_ashrrev_i32_e32 v3, 31, v20
	v_mov_b32_e32 v4, s36
	v_sub_co_u32_e32 v23, vcc, s16, v20
	v_subb_co_u32_e32 v24, vcc, v4, v3, vcc
	s_mov_b64 s[8:9], 0
	v_mov_b32_e32 v25, v20
	v_mov_b32_e32 v26, v0
	s_mov_b32 s43, s42
                                        ; implicit-def: $sgpr26_sgpr27
	s_branch .LBB2_21
.LBB2_19:                               ;   in Loop: Header=BB2_21 Depth=2
	v_mad_u64_u32 v[5:6], s[30:31], s10, v27, 0
	s_add_i32 s34, s43, 0xfffffe00
	s_cmp_lt_i32 s43, 1
	v_mad_u64_u32 v[6:7], s[30:31], s11, v27, v[6:7]
	v_mov_b32_e32 v7, s56
	s_cselect_b64 s[30:31], -1, 0
	v_lshlrev_b64 v[5:6], 3, v[5:6]
	s_andn2_b64 s[26:27], s[26:27], exec
	v_add_co_u32_e32 v5, vcc, s33, v5
	v_addc_co_u32_e32 v6, vcc, v7, v6, vcc
	global_load_dwordx2 v[7:8], v[5:6], off
	v_add_co_u32_e32 v1, vcc, s41, v1
	v_addc_co_u32_e32 v2, vcc, 0, v2, vcc
	v_add_co_u32_e32 v23, vcc, 0x200, v23
	s_and_b64 s[30:31], s[30:31], exec
	v_add_u32_e32 v26, 0xfffffe00, v26
	v_add_u32_e32 v25, 0xfffffe00, v25
	v_addc_co_u32_e32 v24, vcc, 0, v24, vcc
	s_or_b64 s[26:27], s[26:27], s[30:31]
	s_mov_b32 s43, s34
	s_waitcnt vmcnt(0)
	v_add_f64 v[3:4], v[7:8], -v[3:4]
	global_store_dwordx2 v[5:6], v[3:4], off
.LBB2_20:                               ;   in Loop: Header=BB2_21 Depth=2
	s_or_b64 exec, exec, s[28:29]
	s_and_b64 s[28:29], exec, s[26:27]
	s_or_b64 s[8:9], s[28:29], s[8:9]
	s_andn2_b64 exec, exec, s[8:9]
	s_cbranch_execz .LBB2_40
.LBB2_21:                               ;   Parent Loop BB2_5 Depth=1
                                        ; =>  This Loop Header: Depth=2
                                        ;       Child Loop BB2_24 Depth 3
	v_add_u32_e32 v27, s43, v0
	v_cmp_lt_i32_e32 vcc, -1, v27
	s_or_b64 s[26:27], s[26:27], exec
	s_and_saveexec_b64 s[28:29], vcc
	s_cbranch_execz .LBB2_20
; %bb.22:                               ;   in Loop: Header=BB2_21 Depth=2
	v_mad_u64_u32 v[5:6], s[30:31], v23, v25, 0
	s_movk_i32 s44, 0x3000
	s_movk_i32 s45, 0x200
	v_mov_b32_e32 v3, v6
	v_mad_u64_u32 v[6:7], s[30:31], v24, v25, v[3:4]
	v_mov_b32_e32 v3, 0
	v_mov_b32_e32 v4, 0
	v_lshlrev_b64 v[5:6], 2, v[5:6]
	v_and_b32_e32 v5, -8, v5
	v_add_co_u32_e32 v5, vcc, v1, v5
	v_addc_co_u32_e32 v6, vcc, v2, v6, vcc
	s_branch .LBB2_24
.LBB2_23:                               ;   in Loop: Header=BB2_24 Depth=3
	s_or_b64 exec, exec, s[30:31]
	s_waitcnt lgkmcnt(0)
	v_add_f64 v[3:4], v[3:4], v[7:8]
	s_add_i32 s44, s44, 32
	s_add_i32 s45, s45, -4
	v_add_co_u32_e32 v5, vcc, 32, v5
	s_cmp_eq_u32 s45, 0
	v_addc_co_u32_e32 v6, vcc, 0, v6, vcc
	v_add_f64 v[3:4], v[3:4], v[9:10]
	v_add_f64 v[3:4], v[3:4], v[11:12]
	;; [unrolled: 1-line block ×3, first 2 shown]
	s_cbranch_scc1 .LBB2_19
.LBB2_24:                               ;   Parent Loop BB2_5 Depth=1
                                        ;     Parent Loop BB2_21 Depth=2
                                        ; =>    This Inner Loop Header: Depth=3
	v_add_u32_e32 v13, s45, v26
	v_cmp_ne_u32_e32 vcc, s37, v13
	s_xor_b64 s[30:31], s[12:13], -1
	s_or_b64 s[34:35], s[30:31], vcc
                                        ; implicit-def: $vgpr7_vgpr8
	s_and_saveexec_b64 s[46:47], s[34:35]
	s_xor_b64 s[34:35], exec, s[46:47]
	s_cbranch_execz .LBB2_26
; %bb.25:                               ;   in Loop: Header=BB2_24 Depth=3
	global_load_dwordx2 v[7:8], v[5:6], off
	v_mov_b32_e32 v9, s44
	ds_read_b64 v[9:10], v9
	s_waitcnt vmcnt(0) lgkmcnt(0)
	v_mul_f64 v[7:8], v[7:8], v[9:10]
.LBB2_26:                               ;   in Loop: Header=BB2_24 Depth=3
	s_andn2_saveexec_b64 s[34:35], s[34:35]
; %bb.27:                               ;   in Loop: Header=BB2_24 Depth=3
	v_mov_b32_e32 v7, s44
	ds_read_b64 v[7:8], v7
; %bb.28:                               ;   in Loop: Header=BB2_24 Depth=3
	s_or_b64 exec, exec, s[34:35]
	v_cmp_ne_u32_e32 vcc, s38, v13
	s_or_b64 s[34:35], s[30:31], vcc
                                        ; implicit-def: $vgpr9_vgpr10
	s_and_saveexec_b64 s[46:47], s[34:35]
	s_xor_b64 s[34:35], exec, s[46:47]
	s_cbranch_execz .LBB2_30
; %bb.29:                               ;   in Loop: Header=BB2_24 Depth=3
	global_load_dwordx2 v[9:10], v[5:6], off offset:8
	v_mov_b32_e32 v11, s44
	ds_read_b64 v[11:12], v11 offset:8
	s_waitcnt vmcnt(0) lgkmcnt(0)
	v_mul_f64 v[9:10], v[9:10], v[11:12]
.LBB2_30:                               ;   in Loop: Header=BB2_24 Depth=3
	s_andn2_saveexec_b64 s[34:35], s[34:35]
; %bb.31:                               ;   in Loop: Header=BB2_24 Depth=3
	v_mov_b32_e32 v9, s44
	ds_read_b64 v[9:10], v9 offset:8
; %bb.32:                               ;   in Loop: Header=BB2_24 Depth=3
	s_or_b64 exec, exec, s[34:35]
	v_cmp_ne_u32_e32 vcc, s39, v13
	s_or_b64 s[34:35], s[30:31], vcc
                                        ; implicit-def: $vgpr11_vgpr12
	s_and_saveexec_b64 s[46:47], s[34:35]
	s_xor_b64 s[34:35], exec, s[46:47]
	s_cbranch_execz .LBB2_34
; %bb.33:                               ;   in Loop: Header=BB2_24 Depth=3
	global_load_dwordx2 v[11:12], v[5:6], off offset:16
	v_mov_b32_e32 v14, s44
	ds_read_b64 v[28:29], v14 offset:16
	s_waitcnt vmcnt(0) lgkmcnt(0)
	v_mul_f64 v[11:12], v[11:12], v[28:29]
.LBB2_34:                               ;   in Loop: Header=BB2_24 Depth=3
	s_andn2_saveexec_b64 s[34:35], s[34:35]
; %bb.35:                               ;   in Loop: Header=BB2_24 Depth=3
	v_mov_b32_e32 v11, s44
	ds_read_b64 v[11:12], v11 offset:16
; %bb.36:                               ;   in Loop: Header=BB2_24 Depth=3
	s_or_b64 exec, exec, s[34:35]
	v_cmp_ne_u32_e32 vcc, s40, v13
	s_or_b64 s[30:31], s[30:31], vcc
                                        ; implicit-def: $vgpr13_vgpr14
	s_and_saveexec_b64 s[34:35], s[30:31]
	s_xor_b64 s[30:31], exec, s[34:35]
	s_cbranch_execz .LBB2_38
; %bb.37:                               ;   in Loop: Header=BB2_24 Depth=3
	global_load_dwordx2 v[13:14], v[5:6], off offset:24
	v_mov_b32_e32 v28, s44
	ds_read_b64 v[28:29], v28 offset:24
	s_waitcnt vmcnt(0) lgkmcnt(0)
	v_mul_f64 v[13:14], v[13:14], v[28:29]
.LBB2_38:                               ;   in Loop: Header=BB2_24 Depth=3
	s_andn2_saveexec_b64 s[30:31], s[30:31]
	s_cbranch_execz .LBB2_23
; %bb.39:                               ;   in Loop: Header=BB2_24 Depth=3
	v_mov_b32_e32 v13, s44
	ds_read_b64 v[13:14], v13 offset:24
	s_branch .LBB2_23
.LBB2_40:                               ;   in Loop: Header=BB2_5 Depth=1
	s_or_b64 exec, exec, s[8:9]
.LBB2_41:                               ;   in Loop: Header=BB2_5 Depth=1
	s_and_saveexec_b64 s[8:9], s[0:1]
	s_cbranch_execz .LBB2_4
; %bb.42:                               ;   in Loop: Header=BB2_5 Depth=1
	v_mad_u64_u32 v[1:2], s[0:1], s10, v22, 0
	v_mov_b32_e32 v5, s56
	v_mad_u64_u32 v[2:3], s[0:1], s11, v22, v[2:3]
	ds_read_b64 v[3:4], v15
	v_lshlrev_b64 v[1:2], 3, v[1:2]
	v_add_co_u32_e32 v1, vcc, s33, v1
	v_addc_co_u32_e32 v2, vcc, v5, v2, vcc
	s_waitcnt lgkmcnt(0)
	global_store_dwordx2 v[1:2], v[3:4], off
	s_branch .LBB2_4
.LBB2_43:
	s_mov_b64 s[0:1], 0
.LBB2_44:
	s_andn2_b64 vcc, exec, s[0:1]
	s_cbranch_vccnz .LBB2_92
; %bb.45:
	s_andn2_b64 vcc, exec, s[6:7]
	s_cbranch_vccnz .LBB2_92
; %bb.46:
	v_mov_b32_e32 v1, 0x1000
	v_mov_b32_e32 v2, 0
	v_lshl_or_b32 v15, v0, 3, v1
	v_mov_b32_e32 v1, v2
	v_mad_u64_u32 v[3:4], s[0:1], v0, v0, v[0:1]
	v_lshlrev_b32_e32 v1, 10, v0
	v_add_co_u32_e32 v7, vcc, 0x40200, v1
	v_or_b32_e32 v1, 0x200, v0
	v_mov_b32_e32 v6, v2
	v_addc_co_u32_e64 v8, s[0:1], 0, 0, vcc
	s_mov_b32 s16, 0
	v_add_u32_e32 v16, 0x201, v0
	v_mov_b32_e32 v17, s15
	s_xor_b64 s[8:9], s[12:13], -1
	v_mov_b32_e32 v5, v1
	s_mov_b64 s[26:27], s[14:15]
	s_branch .LBB2_48
.LBB2_47:                               ;   in Loop: Header=BB2_48 Depth=1
	s_or_b64 exec, exec, s[4:5]
	v_add_co_u32_e32 v9, vcc, 0x80000, v7
	v_addc_co_u32_e32 v10, vcc, 0, v8, vcc
	v_add_co_u32_e32 v3, vcc, v3, v7
	v_addc_co_u32_e32 v4, vcc, v4, v8, vcc
	v_add_co_u32_e32 v5, vcc, 0x200, v5
	s_add_u32 s26, s26, 0x1000
	v_addc_co_u32_e32 v6, vcc, 0, v6, vcc
	v_mov_b32_e32 v7, v9
	s_addc_u32 s27, s27, 0
	v_add_u32_e32 v16, 0x200, v16
	s_and_b64 vcc, exec, s[2:3]
	v_mov_b32_e32 v8, v10
	s_mov_b32 s16, s36
	s_waitcnt vmcnt(0)
	s_barrier
	s_cbranch_vccnz .LBB2_92
.LBB2_48:                               ; =>This Loop Header: Depth=1
                                        ;     Child Loop BB2_52 Depth 2
                                        ;     Child Loop BB2_66 Depth 2
                                        ;       Child Loop BB2_69 Depth 3
	v_add_u32_e32 v18, s16, v0
	v_cmp_le_i32_e32 vcc, s17, v18
	v_cmp_gt_i32_e64 s[0:1], s17, v18
	s_and_saveexec_b64 s[4:5], s[0:1]
	s_cbranch_execz .LBB2_50
; %bb.49:                               ;   in Loop: Header=BB2_48 Depth=1
	v_mad_u64_u32 v[9:10], s[2:3], s10, v18, 0
	v_mov_b32_e32 v1, v10
	v_mad_u64_u32 v[10:11], s[2:3], s11, v18, v[1:2]
	v_mov_b32_e32 v1, s56
	v_lshlrev_b64 v[9:10], 3, v[9:10]
	v_add_co_u32_e64 v9, s[2:3], s33, v9
	v_addc_co_u32_e64 v10, s[2:3], v1, v10, s[2:3]
	global_load_dwordx2 v[9:10], v[9:10], off
	s_waitcnt vmcnt(0)
	ds_write_b64 v15, v[9:10]
.LBB2_50:                               ;   in Loop: Header=BB2_48 Depth=1
	s_or_b64 exec, exec, s[4:5]
	v_lshlrev_b64 v[9:10], 2, v[3:4]
	v_mov_b32_e32 v19, s27
	v_and_b32_e32 v1, -8, v9
	v_add_co_u32_e64 v9, s[2:3], s26, v1
	v_or_b32_e32 v1, s16, v0
	v_add_u32_e32 v11, 1, v1
	v_addc_co_u32_e64 v10, s[2:3], v19, v10, s[2:3]
	v_mad_u64_u32 v[11:12], s[2:3], v11, v1, 0
	v_cmp_le_i32_e64 s[2:3], s17, v1
	s_mov_b32 s31, 0
	v_lshlrev_b64 v[11:12], 2, v[11:12]
	s_movk_i32 s30, 0x1000
	v_and_b32_e32 v11, -8, v11
	v_add_co_u32_e64 v13, s[4:5], s14, v11
	v_addc_co_u32_e64 v14, s[4:5], v17, v12, s[4:5]
	v_lshlrev_b64 v[11:12], 3, v[1:2]
	s_waitcnt lgkmcnt(0)
	v_add_co_u32_e64 v11, s[4:5], v13, v11
	v_addc_co_u32_e64 v12, s[4:5], v14, v12, s[4:5]
	s_xor_b64 s[4:5], vcc, -1
	s_barrier
	s_branch .LBB2_52
.LBB2_51:                               ;   in Loop: Header=BB2_52 Depth=2
	s_or_b64 exec, exec, s[28:29]
	s_add_i32 s30, s30, 16
	s_add_i32 s31, s34, 1
	v_add_co_u32_e32 v9, vcc, 16, v9
	s_cmpk_eq_i32 s31, 0x200
	v_addc_co_u32_e32 v10, vcc, 0, v10, vcc
	s_cbranch_scc1 .LBB2_62
.LBB2_52:                               ;   Parent Loop BB2_48 Depth=1
                                        ; =>  This Inner Loop Header: Depth=2
	v_cmp_ne_u32_e32 vcc, s31, v0
	s_or_b64 s[28:29], s[12:13], vcc
	s_nor_b64 s[34:35], s[28:29], s[2:3]
	s_and_saveexec_b64 s[28:29], s[34:35]
	s_cbranch_execz .LBB2_54
; %bb.53:                               ;   in Loop: Header=BB2_52 Depth=2
	global_load_dwordx2 v[13:14], v[11:12], off
	ds_read_b64 v[20:21], v15
	s_waitcnt vmcnt(0) lgkmcnt(0)
	v_div_scale_f64 v[22:23], s[34:35], v[13:14], v[13:14], v[20:21]
	v_div_scale_f64 v[28:29], vcc, v[20:21], v[13:14], v[20:21]
	v_rcp_f64_e32 v[24:25], v[22:23]
	v_fma_f64 v[26:27], -v[22:23], v[24:25], 1.0
	v_fma_f64 v[24:25], v[24:25], v[26:27], v[24:25]
	v_fma_f64 v[26:27], -v[22:23], v[24:25], 1.0
	v_fma_f64 v[24:25], v[24:25], v[26:27], v[24:25]
	v_mul_f64 v[26:27], v[28:29], v[24:25]
	v_fma_f64 v[22:23], -v[22:23], v[26:27], v[28:29]
	v_div_fmas_f64 v[22:23], v[22:23], v[24:25], v[26:27]
	v_div_fixup_f64 v[13:14], v[22:23], v[13:14], v[20:21]
	ds_write_b64 v15, v[13:14]
.LBB2_54:                               ;   in Loop: Header=BB2_52 Depth=2
	s_or_b64 exec, exec, s[28:29]
	v_cmp_lt_u32_e32 vcc, s31, v0
	s_waitcnt lgkmcnt(0)
	s_barrier
	s_and_saveexec_b64 s[28:29], vcc
	s_cbranch_execz .LBB2_57
; %bb.55:                               ;   in Loop: Header=BB2_52 Depth=2
	s_add_i32 s34, s16, s31
	s_cmp_lt_i32 s34, s17
	s_cselect_b64 s[34:35], -1, 0
	s_and_b64 s[34:35], s[4:5], s[34:35]
	s_and_b64 exec, exec, s[34:35]
	s_cbranch_execz .LBB2_57
; %bb.56:                               ;   in Loop: Header=BB2_52 Depth=2
	global_load_dwordx2 v[13:14], v[9:10], off
	v_mov_b32_e32 v1, s30
	ds_read_b64 v[20:21], v1
	ds_read_b64 v[22:23], v15
	s_waitcnt vmcnt(0) lgkmcnt(0)
	v_fma_f64 v[13:14], -v[13:14], v[20:21], v[22:23]
	ds_write_b64 v15, v[13:14]
.LBB2_57:                               ;   in Loop: Header=BB2_52 Depth=2
	s_or_b64 exec, exec, s[28:29]
	s_add_i32 s34, s31, 1
	v_cmp_ne_u32_e32 vcc, s34, v0
	s_or_b64 s[28:29], s[12:13], vcc
	s_nor_b64 s[36:37], s[28:29], s[2:3]
	s_and_saveexec_b64 s[28:29], s[36:37]
	s_cbranch_execz .LBB2_59
; %bb.58:                               ;   in Loop: Header=BB2_52 Depth=2
	global_load_dwordx2 v[13:14], v[11:12], off
	ds_read_b64 v[20:21], v15
	s_waitcnt vmcnt(0) lgkmcnt(0)
	v_div_scale_f64 v[22:23], s[36:37], v[13:14], v[13:14], v[20:21]
	v_div_scale_f64 v[28:29], vcc, v[20:21], v[13:14], v[20:21]
	v_rcp_f64_e32 v[24:25], v[22:23]
	v_fma_f64 v[26:27], -v[22:23], v[24:25], 1.0
	v_fma_f64 v[24:25], v[24:25], v[26:27], v[24:25]
	v_fma_f64 v[26:27], -v[22:23], v[24:25], 1.0
	v_fma_f64 v[24:25], v[24:25], v[26:27], v[24:25]
	v_mul_f64 v[26:27], v[28:29], v[24:25]
	v_fma_f64 v[22:23], -v[22:23], v[26:27], v[28:29]
	v_div_fmas_f64 v[22:23], v[22:23], v[24:25], v[26:27]
	v_div_fixup_f64 v[13:14], v[22:23], v[13:14], v[20:21]
	ds_write_b64 v15, v[13:14]
.LBB2_59:                               ;   in Loop: Header=BB2_52 Depth=2
	s_or_b64 exec, exec, s[28:29]
	v_cmp_lt_u32_e32 vcc, s34, v0
	s_waitcnt lgkmcnt(0)
	s_barrier
	s_and_saveexec_b64 s[28:29], vcc
	s_cbranch_execz .LBB2_51
; %bb.60:                               ;   in Loop: Header=BB2_52 Depth=2
	s_add_i32 s31, s16, s31
	s_add_i32 s31, s31, 1
	s_cmp_lt_i32 s31, s17
	s_cselect_b64 s[36:37], -1, 0
	s_and_b64 s[36:37], s[4:5], s[36:37]
	s_and_b64 exec, exec, s[36:37]
	s_cbranch_execz .LBB2_51
; %bb.61:                               ;   in Loop: Header=BB2_52 Depth=2
	global_load_dwordx2 v[13:14], v[9:10], off offset:8
	v_mov_b32_e32 v1, s30
	ds_read_b64 v[20:21], v1 offset:8
	ds_read_b64 v[22:23], v15
	s_waitcnt vmcnt(0) lgkmcnt(0)
	v_fma_f64 v[13:14], -v[13:14], v[20:21], v[22:23]
	ds_write_b64 v15, v[13:14]
	s_branch .LBB2_51
.LBB2_62:                               ;   in Loop: Header=BB2_48 Depth=1
	s_add_i32 s36, s16, 0x200
	s_cmp_ge_i32 s36, s17
	s_cselect_b64 s[2:3], -1, 0
	s_and_b64 vcc, exec, s[2:3]
	s_waitcnt lgkmcnt(0)
	s_barrier
	s_cbranch_vccnz .LBB2_90
; %bb.63:                               ;   in Loop: Header=BB2_48 Depth=1
	v_mov_b32_e32 v10, v6
	s_mov_b64 s[4:5], 0
	v_mov_b32_e32 v1, v16
	v_mov_b32_e32 v9, v5
	;; [unrolled: 1-line block ×3, first 2 shown]
	s_mov_b32 s37, s36
                                        ; implicit-def: $sgpr28_sgpr29
	s_branch .LBB2_66
.LBB2_64:                               ;   in Loop: Header=BB2_66 Depth=2
	v_mad_u64_u32 v[13:14], s[34:35], s10, v21, 0
	s_addk_i32 s37, 0x200
	s_cmp_ge_i32 s37, s17
	v_mad_u64_u32 v[21:22], s[34:35], s11, v21, v[14:15]
	v_mov_b32_e32 v22, s56
	s_cselect_b64 s[34:35], -1, 0
	v_mov_b32_e32 v14, v21
	v_lshlrev_b64 v[13:14], 3, v[13:14]
	s_andn2_b64 s[28:29], s[28:29], exec
	v_add_co_u32_e32 v13, vcc, s33, v13
	v_addc_co_u32_e32 v14, vcc, v22, v14, vcc
	global_load_dwordx2 v[21:22], v[13:14], off
	v_add_co_u32_e32 v9, vcc, 0x200, v9
	s_and_b64 s[34:35], s[34:35], exec
	v_add_u32_e32 v1, 0x200, v1
	v_addc_co_u32_e32 v10, vcc, 0, v10, vcc
	s_or_b64 s[28:29], s[28:29], s[34:35]
	s_waitcnt vmcnt(0)
	v_add_f64 v[11:12], v[21:22], -v[11:12]
	global_store_dwordx2 v[13:14], v[11:12], off
.LBB2_65:                               ;   in Loop: Header=BB2_66 Depth=2
	s_or_b64 exec, exec, s[30:31]
	s_and_b64 s[30:31], exec, s[28:29]
	s_or_b64 s[4:5], s[30:31], s[4:5]
	s_andn2_b64 exec, exec, s[4:5]
	s_cbranch_execz .LBB2_89
.LBB2_66:                               ;   Parent Loop BB2_48 Depth=1
                                        ; =>  This Loop Header: Depth=2
                                        ;       Child Loop BB2_69 Depth 3
	v_add_u32_e32 v21, s37, v0
	v_cmp_gt_i32_e32 vcc, s17, v21
	s_or_b64 s[28:29], s[28:29], exec
	s_and_saveexec_b64 s[30:31], vcc
	s_cbranch_execz .LBB2_65
; %bb.67:                               ;   in Loop: Header=BB2_66 Depth=2
	v_mad_u64_u32 v[11:12], s[34:35], v9, v1, 0
	v_add_u32_e32 v22, 0x1fd, v20
	v_add_u32_e32 v23, 0x1fe, v20
	v_mad_u64_u32 v[12:13], s[34:35], v10, v1, v[12:13]
	v_add_u32_e32 v24, 0x1ff, v20
	v_add_u32_e32 v20, 0x200, v20
	v_lshlrev_b64 v[11:12], 2, v[11:12]
	s_mov_b32 s38, 0
	v_and_b32_e32 v11, -8, v11
	v_add_co_u32_e32 v13, vcc, s26, v11
	v_addc_co_u32_e32 v14, vcc, v19, v12, vcc
	v_mov_b32_e32 v11, 0
	v_mov_b32_e32 v12, 0
	s_movk_i32 s39, 0x1000
	s_branch .LBB2_69
.LBB2_68:                               ;   in Loop: Header=BB2_69 Depth=3
	s_or_b64 exec, exec, s[34:35]
	s_add_i32 s38, s38, 4
	s_add_i32 s39, s39, 32
	v_add_co_u32_e32 v13, vcc, 32, v13
	s_cmpk_eq_i32 s38, 0x200
	v_addc_co_u32_e32 v14, vcc, 0, v14, vcc
	s_cbranch_scc1 .LBB2_64
.LBB2_69:                               ;   Parent Loop BB2_48 Depth=1
                                        ;     Parent Loop BB2_66 Depth=2
                                        ; =>    This Inner Loop Header: Depth=3
	v_cmp_ne_u32_e32 vcc, s38, v20
	s_add_i32 s40, s16, s38
	s_or_b64 s[34:35], s[8:9], vcc
	s_and_saveexec_b64 s[42:43], s[34:35]
	s_xor_b64 s[34:35], exec, s[42:43]
	s_cbranch_execz .LBB2_72
; %bb.70:                               ;   in Loop: Header=BB2_69 Depth=3
	s_cmp_ge_i32 s40, s17
	s_cbranch_scc1 .LBB2_72
; %bb.71:                               ;   in Loop: Header=BB2_69 Depth=3
	global_load_dwordx2 v[25:26], v[13:14], off
	v_mov_b32_e32 v27, s39
	ds_read_b64 v[27:28], v27
	s_waitcnt vmcnt(0) lgkmcnt(0)
	v_fma_f64 v[11:12], v[25:26], v[27:28], v[11:12]
.LBB2_72:                               ;   in Loop: Header=BB2_69 Depth=3
	s_andn2_saveexec_b64 s[34:35], s[34:35]
	s_cbranch_execz .LBB2_74
; %bb.73:                               ;   in Loop: Header=BB2_69 Depth=3
	v_mov_b32_e32 v25, s39
	ds_read_b64 v[25:26], v25
	s_waitcnt lgkmcnt(0)
	v_add_f64 v[11:12], v[11:12], v[25:26]
.LBB2_74:                               ;   in Loop: Header=BB2_69 Depth=3
	s_or_b64 exec, exec, s[34:35]
	v_cmp_ne_u32_e32 vcc, s38, v24
	s_or_b64 s[34:35], s[8:9], vcc
	s_and_saveexec_b64 s[42:43], s[34:35]
	s_xor_b64 s[34:35], exec, s[42:43]
	s_cbranch_execz .LBB2_77
; %bb.75:                               ;   in Loop: Header=BB2_69 Depth=3
	s_add_i32 s41, s40, 1
	s_cmp_ge_i32 s41, s17
	s_cbranch_scc1 .LBB2_77
; %bb.76:                               ;   in Loop: Header=BB2_69 Depth=3
	global_load_dwordx2 v[25:26], v[13:14], off offset:8
	v_mov_b32_e32 v27, s39
	ds_read_b64 v[27:28], v27 offset:8
	s_waitcnt vmcnt(0) lgkmcnt(0)
	v_fma_f64 v[11:12], v[25:26], v[27:28], v[11:12]
.LBB2_77:                               ;   in Loop: Header=BB2_69 Depth=3
	s_andn2_saveexec_b64 s[34:35], s[34:35]
	s_cbranch_execz .LBB2_79
; %bb.78:                               ;   in Loop: Header=BB2_69 Depth=3
	v_mov_b32_e32 v25, s39
	ds_read_b64 v[25:26], v25 offset:8
	s_waitcnt lgkmcnt(0)
	v_add_f64 v[11:12], v[11:12], v[25:26]
.LBB2_79:                               ;   in Loop: Header=BB2_69 Depth=3
	s_or_b64 exec, exec, s[34:35]
	v_cmp_ne_u32_e32 vcc, s38, v23
	s_or_b64 s[34:35], s[8:9], vcc
	s_and_saveexec_b64 s[42:43], s[34:35]
	s_xor_b64 s[34:35], exec, s[42:43]
	s_cbranch_execz .LBB2_82
; %bb.80:                               ;   in Loop: Header=BB2_69 Depth=3
	s_add_i32 s41, s40, 2
	s_cmp_ge_i32 s41, s17
	s_cbranch_scc1 .LBB2_82
; %bb.81:                               ;   in Loop: Header=BB2_69 Depth=3
	global_load_dwordx2 v[25:26], v[13:14], off offset:16
	v_mov_b32_e32 v27, s39
	ds_read_b64 v[27:28], v27 offset:16
	s_waitcnt vmcnt(0) lgkmcnt(0)
	v_fma_f64 v[11:12], v[25:26], v[27:28], v[11:12]
.LBB2_82:                               ;   in Loop: Header=BB2_69 Depth=3
	s_andn2_saveexec_b64 s[34:35], s[34:35]
	s_cbranch_execz .LBB2_84
; %bb.83:                               ;   in Loop: Header=BB2_69 Depth=3
	v_mov_b32_e32 v25, s39
	ds_read_b64 v[25:26], v25 offset:16
	s_waitcnt lgkmcnt(0)
	v_add_f64 v[11:12], v[11:12], v[25:26]
.LBB2_84:                               ;   in Loop: Header=BB2_69 Depth=3
	s_or_b64 exec, exec, s[34:35]
	v_cmp_ne_u32_e32 vcc, s38, v22
	s_or_b64 s[34:35], s[8:9], vcc
	s_and_saveexec_b64 s[42:43], s[34:35]
	s_xor_b64 s[34:35], exec, s[42:43]
	s_cbranch_execz .LBB2_87
; %bb.85:                               ;   in Loop: Header=BB2_69 Depth=3
	s_add_i32 s40, s40, 3
	s_cmp_ge_i32 s40, s17
	s_cbranch_scc1 .LBB2_87
; %bb.86:                               ;   in Loop: Header=BB2_69 Depth=3
	global_load_dwordx2 v[25:26], v[13:14], off offset:24
	v_mov_b32_e32 v27, s39
	ds_read_b64 v[27:28], v27 offset:24
	s_waitcnt vmcnt(0) lgkmcnt(0)
	v_fma_f64 v[11:12], v[25:26], v[27:28], v[11:12]
.LBB2_87:                               ;   in Loop: Header=BB2_69 Depth=3
	s_andn2_saveexec_b64 s[34:35], s[34:35]
	s_cbranch_execz .LBB2_68
; %bb.88:                               ;   in Loop: Header=BB2_69 Depth=3
	v_mov_b32_e32 v25, s39
	ds_read_b64 v[25:26], v25 offset:24
	s_waitcnt lgkmcnt(0)
	v_add_f64 v[11:12], v[11:12], v[25:26]
	s_branch .LBB2_68
.LBB2_89:                               ;   in Loop: Header=BB2_48 Depth=1
	s_or_b64 exec, exec, s[4:5]
.LBB2_90:                               ;   in Loop: Header=BB2_48 Depth=1
	s_and_saveexec_b64 s[4:5], s[0:1]
	s_cbranch_execz .LBB2_47
; %bb.91:                               ;   in Loop: Header=BB2_48 Depth=1
	v_mad_u64_u32 v[9:10], s[0:1], s10, v18, 0
	v_mov_b32_e32 v1, v10
	v_mad_u64_u32 v[10:11], s[0:1], s11, v18, v[1:2]
	ds_read_b64 v[11:12], v15
	v_mov_b32_e32 v1, s56
	v_lshlrev_b64 v[9:10], 3, v[9:10]
	v_add_co_u32_e32 v9, vcc, s33, v9
	v_addc_co_u32_e32 v10, vcc, v1, v10, vcc
	s_waitcnt lgkmcnt(0)
	global_store_dwordx2 v[9:10], v[11:12], off
	s_branch .LBB2_47
.LBB2_92:
	s_mov_b64 s[0:1], 0
.LBB2_93:
	s_andn2_b64 vcc, exec, s[0:1]
	s_cbranch_vccnz .LBB2_159
; %bb.94:
	s_mov_b64 s[0:1], -1
	s_and_b64 vcc, exec, s[22:23]
	s_cbranch_vccz .LBB2_129
; %bb.95:
	s_andn2_b64 vcc, exec, s[6:7]
	s_cbranch_vccnz .LBB2_128
; %bb.96:
	s_lshl_b32 s8, s17, 1
	s_or_b32 s16, s8, 1
	s_ashr_i32 s9, s8, 31
	s_add_u32 s0, s20, s24
	s_addc_u32 s1, s21, s25
	s_add_u32 s57, s18, s0
	s_addc_u32 s2, s19, s1
	s_lshl_b64 s[0:1], s[8:9], 9
	s_add_u32 s30, s0, 0xfffc0200
	s_addc_u32 s31, s1, -1
	s_add_u32 s58, s57, -8
	s_addc_u32 s59, s2, -1
	s_add_u32 s24, s0, 0xfffbfe00
	s_addc_u32 s25, s1, -1
	s_lshl_b64 s[0:1], s[8:9], 1
	s_add_u32 s18, s0, -6
	v_lshlrev_b32_e32 v16, 3, v0
	s_addc_u32 s19, s1, -1
	v_mov_b32_e32 v17, s2
	v_add_co_u32_e32 v2, vcc, s57, v16
	s_add_u32 s20, s0, -2
	v_mov_b32_e32 v1, 0
	v_addc_co_u32_e32 v3, vcc, 0, v17, vcc
	v_or_b32_e32 v18, 0x200, v0
	s_addc_u32 s21, s1, -1
	s_mov_b64 s[22:23], 0
	v_mov_b32_e32 v19, s15
	s_mov_b64 s[26:27], 0
	s_mov_b64 s[28:29], s[8:9]
	;; [unrolled: 1-line block ×3, first 2 shown]
	s_branch .LBB2_98
.LBB2_97:                               ;   in Loop: Header=BB2_98 Depth=1
	s_or_b64 exec, exec, s[34:35]
	s_add_u32 s0, s30, 0xfff80000
	s_addc_u32 s1, s31, -1
	s_add_u32 s22, s22, s30
	s_addc_u32 s23, s23, s31
	s_add_u32 s28, s28, 0xfffffc00
	s_addc_u32 s29, s29, -1
	s_add_u32 s26, s26, 0xfffffe00
	s_addc_u32 s27, s27, -1
	;; [unrolled: 2-line block ×3, first 2 shown]
	s_add_u32 s8, s8, s24
	s_addc_u32 s9, s9, s25
	s_add_u32 s18, s18, 0xfffff800
	s_addc_u32 s19, s19, -1
	s_add_u32 s20, s20, 0xfffff800
	v_add_u32_e32 v18, 0x200, v18
	s_addc_u32 s21, s21, -1
	s_and_b64 vcc, exec, s[4:5]
	s_mov_b64 s[24:25], s[30:31]
	s_mov_b64 s[30:31], s[0:1]
	s_mov_b64 s[34:35], s[2:3]
	s_waitcnt vmcnt(0)
	s_barrier
	s_cbranch_vccnz .LBB2_128
.LBB2_98:                               ; =>This Loop Header: Depth=1
                                        ;     Child Loop BB2_102 Depth 2
                                        ;     Child Loop BB2_111 Depth 2
                                        ;       Child Loop BB2_113 Depth 3
	v_add_u32_e32 v20, s34, v0
	v_cmp_le_i32_e32 vcc, s17, v20
	v_cmp_gt_i32_e64 s[0:1], s17, v20
	s_and_saveexec_b64 s[4:5], s[0:1]
	s_cbranch_execz .LBB2_100
; %bb.99:                               ;   in Loop: Header=BB2_98 Depth=1
	v_mad_u64_u32 v[4:5], s[2:3], s10, v20, 0
	v_mad_u64_u32 v[5:6], s[2:3], s11, v20, v[5:6]
	v_mov_b32_e32 v6, s56
	v_lshlrev_b64 v[4:5], 3, v[4:5]
	v_add_co_u32_e64 v4, s[2:3], s33, v4
	v_addc_co_u32_e64 v5, s[2:3], v6, v5, s[2:3]
	global_load_dwordx2 v[4:5], v[4:5], off
	s_waitcnt vmcnt(0)
	ds_write_b64 v16, v[4:5]
.LBB2_100:                              ;   in Loop: Header=BB2_98 Depth=1
	s_or_b64 exec, exec, s[4:5]
	v_or_b32_e32 v7, s34, v0
	v_sub_u32_e32 v6, s16, v7
	v_mad_u64_u32 v[4:5], s[2:3], v6, v7, 0
	v_ashrrev_i32_e32 v6, 31, v6
	s_mov_b32 s44, 0
	v_mad_u64_u32 v[5:6], s[2:3], v6, v7, v[5:6]
	v_cmp_le_i32_e64 s[2:3], s17, v7
	v_mov_b32_e32 v7, v3
	v_lshlrev_b64 v[4:5], 2, v[4:5]
	s_xor_b64 s[36:37], vcc, -1
	v_and_b32_e32 v4, -8, v4
	v_add_co_u32_e64 v4, s[4:5], s14, v4
	v_addc_co_u32_e64 v5, s[4:5], v19, v5, s[4:5]
	s_mov_b64 s[4:5], 0
	s_mov_b64 s[38:39], s[22:23]
	;; [unrolled: 1-line block ×3, first 2 shown]
	v_mov_b32_e32 v6, v2
	s_waitcnt lgkmcnt(0)
	s_barrier
	s_branch .LBB2_102
.LBB2_101:                              ;   in Loop: Header=BB2_102 Depth=2
	s_or_b64 exec, exec, s[42:43]
	s_add_u32 s4, s4, 1
	s_addc_u32 s5, s5, 0
	s_add_u32 s42, s40, -2
	s_addc_u32 s43, s41, -1
	s_add_u32 s38, s38, s40
	v_add_co_u32_e32 v6, vcc, -8, v6
	s_addc_u32 s39, s39, s41
	s_add_i32 s44, s44, 8
	v_addc_co_u32_e32 v7, vcc, -1, v7, vcc
	s_cmpk_eq_i32 s4, 0x200
	s_mov_b64 s[40:41], s[42:43]
	s_cbranch_scc1 .LBB2_107
.LBB2_102:                              ;   Parent Loop BB2_98 Depth=1
                                        ; =>  This Inner Loop Header: Depth=2
	v_cmp_ne_u32_e32 vcc, s4, v0
	s_or_b64 s[42:43], s[12:13], vcc
	s_nor_b64 s[46:47], s[42:43], s[2:3]
	s_and_saveexec_b64 s[42:43], s[46:47]
	s_cbranch_execz .LBB2_104
; %bb.103:                              ;   in Loop: Header=BB2_102 Depth=2
	global_load_dwordx2 v[8:9], v[4:5], off
	ds_read_b64 v[10:11], v16
	s_waitcnt vmcnt(0) lgkmcnt(0)
	v_div_scale_f64 v[12:13], s[46:47], v[8:9], v[8:9], v[10:11]
	v_div_scale_f64 v[23:24], vcc, v[10:11], v[8:9], v[10:11]
	v_rcp_f64_e32 v[14:15], v[12:13]
	v_fma_f64 v[21:22], -v[12:13], v[14:15], 1.0
	v_fma_f64 v[14:15], v[14:15], v[21:22], v[14:15]
	v_fma_f64 v[21:22], -v[12:13], v[14:15], 1.0
	v_fma_f64 v[14:15], v[14:15], v[21:22], v[14:15]
	v_mul_f64 v[21:22], v[23:24], v[14:15]
	v_fma_f64 v[12:13], -v[12:13], v[21:22], v[23:24]
	v_div_fmas_f64 v[12:13], v[12:13], v[14:15], v[21:22]
	v_div_fixup_f64 v[8:9], v[12:13], v[8:9], v[10:11]
	ds_write_b64 v16, v[8:9]
.LBB2_104:                              ;   in Loop: Header=BB2_102 Depth=2
	s_or_b64 exec, exec, s[42:43]
	v_cmp_lt_u32_e32 vcc, s4, v0
	s_waitcnt lgkmcnt(0)
	s_barrier
	s_and_saveexec_b64 s[42:43], vcc
	s_cbranch_execz .LBB2_101
; %bb.105:                              ;   in Loop: Header=BB2_102 Depth=2
	s_add_i32 s45, s34, s4
	s_cmp_lt_i32 s45, s17
	s_cselect_b64 s[46:47], -1, 0
	s_and_b64 s[46:47], s[36:37], s[46:47]
	s_and_b64 exec, exec, s[46:47]
	s_cbranch_execz .LBB2_101
; %bb.106:                              ;   in Loop: Header=BB2_102 Depth=2
	s_lshl_b64 s[46:47], s[38:39], 2
	s_and_b32 s45, s46, -8
	v_mov_b32_e32 v9, s47
	v_add_co_u32_e32 v8, vcc, s45, v6
	v_addc_co_u32_e32 v9, vcc, v7, v9, vcc
	global_load_dwordx2 v[8:9], v[8:9], off
	v_mov_b32_e32 v10, s44
	ds_read_b64 v[10:11], v10
	ds_read_b64 v[12:13], v16
	s_waitcnt vmcnt(0) lgkmcnt(0)
	v_fma_f64 v[8:9], -v[8:9], v[10:11], v[12:13]
	ds_write_b64 v16, v[8:9]
	s_branch .LBB2_101
.LBB2_107:                              ;   in Loop: Header=BB2_98 Depth=1
	s_add_u32 s2, s34, 0x200
	s_addc_u32 s3, s35, 0
	s_cmp_ge_i32 s2, s17
	s_cselect_b64 s[4:5], -1, 0
	s_and_b64 vcc, exec, s[4:5]
	s_waitcnt lgkmcnt(0)
	s_barrier
	s_cbranch_vccnz .LBB2_126
; %bb.108:                              ;   in Loop: Header=BB2_98 Depth=1
	v_ashrrev_i32_e32 v5, 31, v18
	v_mov_b32_e32 v6, s27
	v_add_co_u32_e32 v4, vcc, s26, v18
	v_addc_co_u32_e32 v5, vcc, v6, v5, vcc
	v_lshlrev_b64 v[6:7], 3, v[4:5]
	v_mov_b32_e32 v5, s59
	v_add_co_u32_e32 v4, vcc, s58, v6
	v_addc_co_u32_e32 v5, vcc, v5, v7, vcc
	v_add_co_u32_e32 v6, vcc, s57, v6
	v_mov_b32_e32 v9, v1
	s_mov_b32 s35, s2
	v_addc_co_u32_e32 v7, vcc, v17, v7, vcc
	s_mov_b64 s[36:37], 0
	v_mov_b32_e32 v8, v0
                                        ; implicit-def: $sgpr38_sgpr39
	s_branch .LBB2_111
.LBB2_109:                              ;   in Loop: Header=BB2_111 Depth=2
	v_mad_u64_u32 v[12:13], s[42:43], s10, v21, 0
	s_addk_i32 s35, 0x200
	s_cmp_ge_i32 s35, s17
	v_mad_u64_u32 v[13:14], s[42:43], s11, v21, v[13:14]
	v_mov_b32_e32 v14, s56
	s_cselect_b64 s[42:43], -1, 0
	v_lshlrev_b64 v[12:13], 3, v[12:13]
	s_andn2_b64 s[38:39], s[38:39], exec
	v_add_co_u32_e32 v12, vcc, s33, v12
	v_addc_co_u32_e32 v13, vcc, v14, v13, vcc
	global_load_dwordx2 v[14:15], v[12:13], off
	v_add_co_u32_e32 v4, vcc, 0x1000, v4
	v_addc_co_u32_e32 v5, vcc, 0, v5, vcc
	v_add_co_u32_e32 v6, vcc, 0x1000, v6
	s_and_b64 s[42:43], s[42:43], exec
	v_addc_co_u32_e32 v7, vcc, 0, v7, vcc
	s_or_b64 s[38:39], s[38:39], s[42:43]
	s_waitcnt vmcnt(0)
	v_add_f64 v[10:11], v[14:15], -v[10:11]
	global_store_dwordx2 v[12:13], v[10:11], off
.LBB2_110:                              ;   in Loop: Header=BB2_111 Depth=2
	s_or_b64 exec, exec, s[40:41]
	s_and_b64 s[40:41], exec, s[38:39]
	s_or_b64 s[36:37], s[40:41], s[36:37]
	s_andn2_b64 exec, exec, s[36:37]
	s_cbranch_execz .LBB2_125
.LBB2_111:                              ;   Parent Loop BB2_98 Depth=1
                                        ; =>  This Loop Header: Depth=2
                                        ;       Child Loop BB2_113 Depth 3
	v_add_u32_e32 v21, s35, v0
	v_cmp_gt_i32_e32 vcc, s17, v21
	s_or_b64 s[38:39], s[38:39], exec
	s_and_saveexec_b64 s[40:41], vcc
	s_cbranch_execz .LBB2_110
; %bb.112:                              ;   in Loop: Header=BB2_111 Depth=2
	v_add_co_u32_e32 v22, vcc, 0x1ff, v8
	v_add_co_u32_e32 v8, vcc, 0x200, v8
	v_mov_b32_e32 v10, 0
	v_mov_b32_e32 v13, v7
	;; [unrolled: 1-line block ×3, first 2 shown]
	v_addc_co_u32_e32 v9, vcc, 0, v9, vcc
	v_mov_b32_e32 v11, 0
	s_mov_b64 s[42:43], 0
	s_mov_b32 s60, 0
	s_mov_b64 s[44:45], s[22:23]
	s_mov_b64 s[48:49], s[20:21]
	v_mov_b32_e32 v12, v6
	s_mov_b64 s[46:47], s[8:9]
	s_mov_b64 s[50:51], s[18:19]
	v_mov_b32_e32 v14, v4
.LBB2_113:                              ;   Parent Loop BB2_98 Depth=1
                                        ;     Parent Loop BB2_111 Depth=2
                                        ; =>    This Inner Loop Header: Depth=3
	v_cmp_ne_u32_e32 vcc, s42, v8
	s_xor_b64 s[52:53], s[12:13], -1
	s_add_u32 s61, s34, s42
	s_or_b64 s[54:55], s[52:53], vcc
	s_and_saveexec_b64 s[62:63], s[54:55]
	s_xor_b64 s[54:55], exec, s[62:63]
	s_cbranch_execz .LBB2_116
; %bb.114:                              ;   in Loop: Header=BB2_113 Depth=3
	s_cmp_ge_i32 s61, s17
	s_cbranch_scc1 .LBB2_116
; %bb.115:                              ;   in Loop: Header=BB2_113 Depth=3
	s_lshl_b64 s[62:63], s[44:45], 2
	s_and_b32 s62, s62, -8
	v_mov_b32_e32 v24, s63
	v_add_co_u32_e32 v23, vcc, s62, v12
	v_addc_co_u32_e32 v24, vcc, v13, v24, vcc
	global_load_dwordx2 v[23:24], v[23:24], off
	v_mov_b32_e32 v25, s60
	ds_read_b64 v[25:26], v25
	s_waitcnt vmcnt(0) lgkmcnt(0)
	v_fma_f64 v[10:11], v[23:24], v[25:26], v[10:11]
.LBB2_116:                              ;   in Loop: Header=BB2_113 Depth=3
	s_andn2_saveexec_b64 s[54:55], s[54:55]
	s_cbranch_execz .LBB2_118
; %bb.117:                              ;   in Loop: Header=BB2_113 Depth=3
	v_mov_b32_e32 v23, s60
	ds_read_b64 v[23:24], v23
	s_waitcnt lgkmcnt(0)
	v_add_f64 v[10:11], v[10:11], v[23:24]
.LBB2_118:                              ;   in Loop: Header=BB2_113 Depth=3
	s_or_b64 exec, exec, s[54:55]
	v_cmp_ne_u32_e32 vcc, s42, v22
	s_or_b64 s[52:53], s[52:53], vcc
	s_and_saveexec_b64 s[54:55], s[52:53]
	s_xor_b64 s[52:53], exec, s[54:55]
	s_cbranch_execz .LBB2_121
; %bb.119:                              ;   in Loop: Header=BB2_113 Depth=3
	s_add_i32 s61, s61, 1
	s_cmp_ge_i32 s61, s17
	s_cbranch_scc1 .LBB2_121
; %bb.120:                              ;   in Loop: Header=BB2_113 Depth=3
	s_lshl_b64 s[54:55], s[46:47], 2
	s_and_b32 s54, s54, -8
	v_mov_b32_e32 v24, s55
	v_add_co_u32_e32 v23, vcc, s54, v14
	v_addc_co_u32_e32 v24, vcc, v15, v24, vcc
	global_load_dwordx2 v[23:24], v[23:24], off
	v_mov_b32_e32 v25, s60
	ds_read_b64 v[25:26], v25 offset:8
	s_waitcnt vmcnt(0) lgkmcnt(0)
	v_fma_f64 v[10:11], v[23:24], v[25:26], v[10:11]
.LBB2_121:                              ;   in Loop: Header=BB2_113 Depth=3
	s_andn2_saveexec_b64 s[52:53], s[52:53]
	s_cbranch_execz .LBB2_123
; %bb.122:                              ;   in Loop: Header=BB2_113 Depth=3
	v_mov_b32_e32 v23, s60
	ds_read_b64 v[23:24], v23 offset:8
	s_waitcnt lgkmcnt(0)
	v_add_f64 v[10:11], v[10:11], v[23:24]
.LBB2_123:                              ;   in Loop: Header=BB2_113 Depth=3
	s_or_b64 exec, exec, s[52:53]
	s_add_u32 s42, s42, 2
	s_addc_u32 s43, s43, 0
	s_add_i32 s60, s60, 16
	s_add_u32 s52, s50, -8
	s_addc_u32 s53, s51, -1
	s_add_u32 s46, s46, s50
	s_addc_u32 s47, s47, s51
	s_add_u32 s50, s48, -8
	v_add_co_u32_e32 v14, vcc, -16, v14
	s_addc_u32 s51, s49, -1
	v_addc_co_u32_e32 v15, vcc, -1, v15, vcc
	s_add_u32 s44, s44, s48
	s_addc_u32 s45, s45, s49
	v_add_co_u32_e32 v12, vcc, -16, v12
	s_cmpk_eq_i32 s42, 0x200
	v_addc_co_u32_e32 v13, vcc, -1, v13, vcc
	s_cbranch_scc1 .LBB2_109
; %bb.124:                              ;   in Loop: Header=BB2_113 Depth=3
	s_mov_b64 s[48:49], s[50:51]
	s_mov_b64 s[50:51], s[52:53]
	s_branch .LBB2_113
.LBB2_125:                              ;   in Loop: Header=BB2_98 Depth=1
	s_or_b64 exec, exec, s[36:37]
.LBB2_126:                              ;   in Loop: Header=BB2_98 Depth=1
	s_and_saveexec_b64 s[34:35], s[0:1]
	s_cbranch_execz .LBB2_97
; %bb.127:                              ;   in Loop: Header=BB2_98 Depth=1
	v_mad_u64_u32 v[4:5], s[0:1], s10, v20, 0
	v_mov_b32_e32 v8, s56
	v_mad_u64_u32 v[5:6], s[0:1], s11, v20, v[5:6]
	ds_read_b64 v[6:7], v16
	v_lshlrev_b64 v[4:5], 3, v[4:5]
	v_add_co_u32_e32 v4, vcc, s33, v4
	v_addc_co_u32_e32 v5, vcc, v8, v5, vcc
	s_waitcnt lgkmcnt(0)
	global_store_dwordx2 v[4:5], v[6:7], off
	s_branch .LBB2_97
.LBB2_128:
	s_mov_b64 s[0:1], 0
.LBB2_129:
	s_andn2_b64 vcc, exec, s[0:1]
	s_cbranch_vccnz .LBB2_159
; %bb.130:
	s_andn2_b64 vcc, exec, s[6:7]
	s_cbranch_vccnz .LBB2_159
; %bb.131:
	v_mov_b32_e32 v1, 0x2000
	v_mov_b32_e32 v3, 0
	s_add_i32 s28, s17, 0xfffffe00
	v_lshl_or_b32 v15, v0, 3, v1
	s_mov_b32 s26, 0
	s_mov_b32 s27, s17
	v_mov_b32_e32 v1, v3
	v_mov_b32_e32 v16, s15
	s_xor_b64 s[4:5], s[12:13], -1
	s_branch .LBB2_133
.LBB2_132:                              ;   in Loop: Header=BB2_133 Depth=1
	s_or_b64 exec, exec, s[6:7]
	s_add_u32 s27, s27, 0xfffffe00
	s_addc_u32 s26, s26, -1
	s_and_b64 vcc, exec, s[2:3]
	s_mov_b32 s28, s15
	s_waitcnt vmcnt(0)
	s_barrier
	s_cbranch_vccnz .LBB2_159
.LBB2_133:                              ; =>This Loop Header: Depth=1
                                        ;     Child Loop BB2_137 Depth 2
                                        ;     Child Loop BB2_145 Depth 2
                                        ;       Child Loop BB2_148 Depth 3
	v_add_u32_e32 v4, s28, v0
	v_cmp_gt_i32_e32 vcc, 0, v4
	v_cmp_lt_i32_e64 s[0:1], -1, v4
	v_mov_b32_e32 v5, v3
	s_and_saveexec_b64 s[6:7], s[0:1]
	s_cbranch_execz .LBB2_135
; %bb.134:                              ;   in Loop: Header=BB2_133 Depth=1
	v_mad_u64_u32 v[6:7], s[2:3], s10, v4, 0
	v_mov_b32_e32 v2, v7
	v_mad_u64_u32 v[7:8], s[2:3], s11, v4, v[2:3]
	v_mov_b32_e32 v2, s56
	v_lshlrev_b64 v[6:7], 3, v[6:7]
	v_add_co_u32_e64 v6, s[2:3], s33, v6
	v_addc_co_u32_e64 v7, s[2:3], v2, v7, s[2:3]
	global_load_dwordx2 v[6:7], v[6:7], off
	s_waitcnt vmcnt(0)
	ds_write_b64 v15, v[6:7]
.LBB2_135:                              ;   in Loop: Header=BB2_133 Depth=1
	s_or_b64 exec, exec, s[6:7]
	v_add_u32_e32 v2, 1, v4
	v_mad_u64_u32 v[8:9], s[2:3], v4, v2, 0
	v_lshlrev_b64 v[10:11], 3, v[4:5]
	v_ashrrev_i32_e32 v7, 31, v4
	v_mov_b32_e32 v6, v4
	v_add_co_u32_e64 v10, s[2:3], s14, v10
	v_lshlrev_b64 v[5:6], 3, v[6:7]
	v_addc_co_u32_e64 v11, s[2:3], v16, v11, s[2:3]
	v_lshlrev_b64 v[8:9], 2, v[8:9]
	v_add_co_u32_e64 v2, s[2:3], s14, v5
	v_addc_co_u32_e64 v7, s[2:3], v16, v6, s[2:3]
	v_and_b32_e32 v5, -8, v8
	v_add_co_u32_e64 v5, s[2:3], v10, v5
	v_addc_co_u32_e64 v6, s[2:3], v11, v9, s[2:3]
	s_or_b64 s[2:3], s[12:13], vcc
	s_movk_i32 s8, 0x1ff
	s_movk_i32 s9, 0x2ff8
	s_xor_b64 s[6:7], s[2:3], -1
	s_waitcnt lgkmcnt(0)
	s_barrier
	s_branch .LBB2_137
.LBB2_136:                              ;   in Loop: Header=BB2_137 Depth=2
	s_or_b64 exec, exec, s[2:3]
	s_add_i32 s8, s8, -1
	s_add_i32 s9, s9, -8
	s_cmp_eq_u32 s8, -1
	s_cbranch_scc1 .LBB2_141
.LBB2_137:                              ;   Parent Loop BB2_133 Depth=1
                                        ; =>  This Inner Loop Header: Depth=2
	v_cmp_eq_u32_e32 vcc, s8, v0
	s_and_b64 s[16:17], vcc, s[6:7]
	s_and_saveexec_b64 s[2:3], s[16:17]
	s_cbranch_execz .LBB2_139
; %bb.138:                              ;   in Loop: Header=BB2_137 Depth=2
	global_load_dwordx2 v[8:9], v[5:6], off
	ds_read_b64 v[10:11], v15
	s_waitcnt vmcnt(0) lgkmcnt(0)
	v_div_scale_f64 v[12:13], s[16:17], v[8:9], v[8:9], v[10:11]
	v_div_scale_f64 v[21:22], vcc, v[10:11], v[8:9], v[10:11]
	v_rcp_f64_e32 v[17:18], v[12:13]
	v_fma_f64 v[19:20], -v[12:13], v[17:18], 1.0
	v_fma_f64 v[17:18], v[17:18], v[19:20], v[17:18]
	v_fma_f64 v[19:20], -v[12:13], v[17:18], 1.0
	v_fma_f64 v[17:18], v[17:18], v[19:20], v[17:18]
	v_mul_f64 v[19:20], v[21:22], v[17:18]
	v_fma_f64 v[12:13], -v[12:13], v[19:20], v[21:22]
	v_div_fmas_f64 v[12:13], v[12:13], v[17:18], v[19:20]
	v_div_fixup_f64 v[8:9], v[12:13], v[8:9], v[10:11]
	ds_write_b64 v15, v[8:9]
.LBB2_139:                              ;   in Loop: Header=BB2_137 Depth=2
	s_or_b64 exec, exec, s[2:3]
	s_add_i32 s16, s27, s8
	s_add_i32 s15, s16, 0xfffffe00
	v_or_b32_e32 v8, s15, v4
	v_cmp_gt_u32_e32 vcc, s8, v0
	v_cmp_lt_i32_e64 s[2:3], -1, v8
	s_and_b64 s[18:19], vcc, s[2:3]
	s_waitcnt lgkmcnt(0)
	s_barrier
	s_and_saveexec_b64 s[2:3], s[18:19]
	s_cbranch_execz .LBB2_136
; %bb.140:                              ;   in Loop: Header=BB2_137 Depth=2
	s_addk_i32 s16, 0xfe01
	s_mul_hi_u32 s17, s16, s15
	s_mul_i32 s16, s16, s15
	s_lshl_b64 s[16:17], s[16:17], 2
	s_and_b32 s15, s16, -8
	v_mov_b32_e32 v9, s17
	v_add_co_u32_e32 v8, vcc, s15, v2
	v_addc_co_u32_e32 v9, vcc, v7, v9, vcc
	global_load_dwordx2 v[8:9], v[8:9], off
	v_mov_b32_e32 v10, s9
	ds_read_b64 v[10:11], v10
	ds_read_b64 v[12:13], v15
	s_waitcnt vmcnt(0) lgkmcnt(0)
	v_fma_f64 v[8:9], -v[8:9], v[10:11], v[12:13]
	ds_write_b64 v15, v[8:9]
	s_branch .LBB2_136
.LBB2_141:                              ;   in Loop: Header=BB2_133 Depth=1
	s_add_i32 s15, s28, 0xfffffe00
	s_cmp_lt_i32 s28, 1
	s_cselect_b64 s[2:3], -1, 0
	s_and_b64 vcc, exec, s[2:3]
	s_waitcnt lgkmcnt(0)
	s_barrier
	s_cbranch_vccnz .LBB2_157
; %bb.142:                              ;   in Loop: Header=BB2_133 Depth=1
	v_mov_b32_e32 v6, v1
	s_mov_b64 s[6:7], 0
	v_mov_b32_e32 v5, v0
	s_mov_b32 s29, s15
                                        ; implicit-def: $sgpr8_sgpr9
	s_branch .LBB2_145
.LBB2_143:                              ;   in Loop: Header=BB2_145 Depth=2
	v_mad_u64_u32 v[9:10], s[18:19], s10, v2, 0
	s_add_i32 s20, s29, 0xfffffe00
	s_cmp_lt_i32 s29, 1
	v_mad_u64_u32 v[10:11], s[18:19], s11, v2, v[10:11]
	v_mov_b32_e32 v2, s56
	s_cselect_b64 s[18:19], -1, 0
	v_lshlrev_b64 v[9:10], 3, v[9:10]
	s_andn2_b64 s[8:9], s[8:9], exec
	v_add_co_u32_e32 v9, vcc, s33, v9
	v_addc_co_u32_e32 v10, vcc, v2, v10, vcc
	global_load_dwordx2 v[11:12], v[9:10], off
	v_add_co_u32_e32 v5, vcc, 0xfffffe00, v5
	s_and_b64 s[18:19], s[18:19], exec
	v_addc_co_u32_e32 v6, vcc, -1, v6, vcc
	s_or_b64 s[8:9], s[8:9], s[18:19]
	s_mov_b32 s29, s20
	s_waitcnt vmcnt(0)
	v_add_f64 v[7:8], v[11:12], -v[7:8]
	global_store_dwordx2 v[9:10], v[7:8], off
.LBB2_144:                              ;   in Loop: Header=BB2_145 Depth=2
	s_or_b64 exec, exec, s[16:17]
	s_and_b64 s[16:17], exec, s[8:9]
	s_or_b64 s[6:7], s[16:17], s[6:7]
	s_andn2_b64 exec, exec, s[6:7]
	s_cbranch_execz .LBB2_156
.LBB2_145:                              ;   Parent Loop BB2_133 Depth=1
                                        ; =>  This Loop Header: Depth=2
                                        ;       Child Loop BB2_148 Depth 3
	v_add_u32_e32 v2, s29, v0
	v_cmp_lt_i32_e32 vcc, -1, v2
	s_or_b64 s[8:9], s[8:9], exec
	s_and_saveexec_b64 s[16:17], vcc
	s_cbranch_execz .LBB2_144
; %bb.146:                              ;   in Loop: Header=BB2_145 Depth=2
	v_lshlrev_b64 v[7:8], 3, v[2:3]
	s_movk_i32 s30, 0x2000
	v_add_co_u32_e32 v17, vcc, s14, v7
	v_addc_co_u32_e32 v18, vcc, v16, v8, vcc
	v_mov_b32_e32 v7, 0
	v_add_co_u32_e32 v19, vcc, 0xfffffdff, v5
	v_add_co_u32_e32 v20, vcc, 0xfffffe00, v5
	v_mov_b32_e32 v8, 0
	s_mov_b64 s[18:19], 0
	s_branch .LBB2_148
.LBB2_147:                              ;   in Loop: Header=BB2_148 Depth=3
	s_or_b64 exec, exec, s[20:21]
	s_waitcnt lgkmcnt(0)
	v_add_f64 v[7:8], v[7:8], v[9:10]
	s_add_i32 s30, s30, 16
	s_add_u32 s18, s18, 2
	s_addc_u32 s19, s19, 0
	s_cmpk_eq_i32 s18, 0x200
	v_add_f64 v[7:8], v[7:8], v[13:14]
	s_cbranch_scc1 .LBB2_143
.LBB2_148:                              ;   Parent Loop BB2_133 Depth=1
                                        ;     Parent Loop BB2_145 Depth=2
                                        ; =>    This Inner Loop Header: Depth=3
	v_cmp_ne_u32_e32 vcc, s18, v20
	s_or_b64 s[24:25], s[4:5], vcc
                                        ; implicit-def: $vgpr9_vgpr10
                                        ; implicit-def: $sgpr20_sgpr21
                                        ; implicit-def: $sgpr22_sgpr23
	s_and_saveexec_b64 s[34:35], s[24:25]
	s_xor_b64 s[24:25], exec, s[34:35]
	s_cbranch_execz .LBB2_150
; %bb.149:                              ;   in Loop: Header=BB2_148 Depth=3
	s_add_u32 s20, s27, s18
	s_addc_u32 s21, s26, s19
	s_add_u32 s22, s20, 0xfffffe01
	s_addc_u32 s23, s21, 0
	;; [unrolled: 2-line block ×3, first 2 shown]
	s_mul_i32 s34, s22, s34
	s_mul_hi_u32 s35, s22, s31
	s_add_i32 s35, s35, s34
	s_mul_i32 s34, s22, s31
	s_lshl_b64 s[34:35], s[34:35], 2
	s_and_b32 s31, s34, -8
	v_mov_b32_e32 v10, s35
	v_add_co_u32_e32 v9, vcc, s31, v17
	v_addc_co_u32_e32 v10, vcc, v18, v10, vcc
	global_load_dwordx2 v[9:10], v[9:10], off
	v_mov_b32_e32 v11, s30
	ds_read_b64 v[11:12], v11
	s_waitcnt vmcnt(0) lgkmcnt(0)
	v_mul_f64 v[9:10], v[9:10], v[11:12]
.LBB2_150:                              ;   in Loop: Header=BB2_148 Depth=3
	s_or_saveexec_b64 s[24:25], s[24:25]
	v_mov_b32_e32 v11, s22
	v_mov_b32_e32 v12, s23
	v_mov_b32_e32 v12, s20
	v_mov_b32_e32 v13, s21
	s_xor_b64 exec, exec, s[24:25]
	s_cbranch_execz .LBB2_152
; %bb.151:                              ;   in Loop: Header=BB2_148 Depth=3
	v_mov_b32_e32 v9, s30
	s_add_u32 s20, s27, s18
	ds_read_b64 v[9:10], v9
	s_addc_u32 s21, s26, s19
	s_add_u32 s22, s20, 0xfffffe01
	s_addc_u32 s23, s21, 0
	v_mov_b32_e32 v11, s22
	v_mov_b32_e32 v12, s23
	;; [unrolled: 1-line block ×4, first 2 shown]
.LBB2_152:                              ;   in Loop: Header=BB2_148 Depth=3
	s_or_b64 exec, exec, s[24:25]
	v_cmp_ne_u32_e32 vcc, s18, v19
	s_or_b64 s[20:21], s[4:5], vcc
                                        ; implicit-def: $vgpr13_vgpr14
	s_and_saveexec_b64 s[22:23], s[20:21]
	s_xor_b64 s[20:21], exec, s[22:23]
	s_cbranch_execz .LBB2_154
; %bb.153:                              ;   in Loop: Header=BB2_148 Depth=3
	v_add_u32_e32 v12, 0xfffffe02, v12
	v_mad_u64_u32 v[11:12], s[22:23], v12, v11, 0
	v_mov_b32_e32 v13, s30
	ds_read_b64 v[13:14], v13 offset:8
	v_lshlrev_b64 v[11:12], 2, v[11:12]
	v_and_b32_e32 v11, -8, v11
	v_add_co_u32_e32 v11, vcc, v17, v11
	v_addc_co_u32_e32 v12, vcc, v18, v12, vcc
	global_load_dwordx2 v[11:12], v[11:12], off
	s_waitcnt vmcnt(0) lgkmcnt(0)
	v_mul_f64 v[13:14], v[11:12], v[13:14]
.LBB2_154:                              ;   in Loop: Header=BB2_148 Depth=3
	s_andn2_saveexec_b64 s[20:21], s[20:21]
	s_cbranch_execz .LBB2_147
; %bb.155:                              ;   in Loop: Header=BB2_148 Depth=3
	v_mov_b32_e32 v11, s30
	ds_read_b64 v[13:14], v11 offset:8
	s_branch .LBB2_147
.LBB2_156:                              ;   in Loop: Header=BB2_133 Depth=1
	s_or_b64 exec, exec, s[6:7]
.LBB2_157:                              ;   in Loop: Header=BB2_133 Depth=1
	s_and_saveexec_b64 s[6:7], s[0:1]
	s_cbranch_execz .LBB2_132
; %bb.158:                              ;   in Loop: Header=BB2_133 Depth=1
	v_mad_u64_u32 v[5:6], s[0:1], s10, v4, 0
	v_mov_b32_e32 v2, v6
	v_mad_u64_u32 v[6:7], s[0:1], s11, v4, v[2:3]
	ds_read_b64 v[7:8], v15
	v_mov_b32_e32 v2, s56
	v_lshlrev_b64 v[4:5], 3, v[5:6]
	v_add_co_u32_e32 v4, vcc, s33, v4
	v_addc_co_u32_e32 v5, vcc, v2, v5, vcc
	s_waitcnt lgkmcnt(0)
	global_store_dwordx2 v[4:5], v[7:8], off
	s_branch .LBB2_132
.LBB2_159:
	s_endpgm
	.section	.rodata,"a",@progbits
	.p2align	6, 0x0
	.amdhsa_kernel _ZL19rocblas_tpsv_kernelILb1ELi512EPKdPdEv18rocblas_operation_bbiT1_llT2_lll
		.amdhsa_group_segment_fixed_size 16384
		.amdhsa_private_segment_fixed_size 0
		.amdhsa_kernarg_size 72
		.amdhsa_user_sgpr_count 6
		.amdhsa_user_sgpr_private_segment_buffer 1
		.amdhsa_user_sgpr_dispatch_ptr 0
		.amdhsa_user_sgpr_queue_ptr 0
		.amdhsa_user_sgpr_kernarg_segment_ptr 1
		.amdhsa_user_sgpr_dispatch_id 0
		.amdhsa_user_sgpr_flat_scratch_init 0
		.amdhsa_user_sgpr_private_segment_size 0
		.amdhsa_uses_dynamic_stack 0
		.amdhsa_system_sgpr_private_segment_wavefront_offset 0
		.amdhsa_system_sgpr_workgroup_id_x 1
		.amdhsa_system_sgpr_workgroup_id_y 0
		.amdhsa_system_sgpr_workgroup_id_z 0
		.amdhsa_system_sgpr_workgroup_info 0
		.amdhsa_system_vgpr_workitem_id 0
		.amdhsa_next_free_vgpr 30
		.amdhsa_next_free_sgpr 64
		.amdhsa_reserve_vcc 1
		.amdhsa_reserve_flat_scratch 0
		.amdhsa_float_round_mode_32 0
		.amdhsa_float_round_mode_16_64 0
		.amdhsa_float_denorm_mode_32 3
		.amdhsa_float_denorm_mode_16_64 3
		.amdhsa_dx10_clamp 1
		.amdhsa_ieee_mode 1
		.amdhsa_fp16_overflow 0
		.amdhsa_exception_fp_ieee_invalid_op 0
		.amdhsa_exception_fp_denorm_src 0
		.amdhsa_exception_fp_ieee_div_zero 0
		.amdhsa_exception_fp_ieee_overflow 0
		.amdhsa_exception_fp_ieee_underflow 0
		.amdhsa_exception_fp_ieee_inexact 0
		.amdhsa_exception_int_div_zero 0
	.end_amdhsa_kernel
	.section	.text._ZL19rocblas_tpsv_kernelILb1ELi512EPKdPdEv18rocblas_operation_bbiT1_llT2_lll,"axG",@progbits,_ZL19rocblas_tpsv_kernelILb1ELi512EPKdPdEv18rocblas_operation_bbiT1_llT2_lll,comdat
.Lfunc_end2:
	.size	_ZL19rocblas_tpsv_kernelILb1ELi512EPKdPdEv18rocblas_operation_bbiT1_llT2_lll, .Lfunc_end2-_ZL19rocblas_tpsv_kernelILb1ELi512EPKdPdEv18rocblas_operation_bbiT1_llT2_lll
                                        ; -- End function
	.set _ZL19rocblas_tpsv_kernelILb1ELi512EPKdPdEv18rocblas_operation_bbiT1_llT2_lll.num_vgpr, 30
	.set _ZL19rocblas_tpsv_kernelILb1ELi512EPKdPdEv18rocblas_operation_bbiT1_llT2_lll.num_agpr, 0
	.set _ZL19rocblas_tpsv_kernelILb1ELi512EPKdPdEv18rocblas_operation_bbiT1_llT2_lll.numbered_sgpr, 64
	.set _ZL19rocblas_tpsv_kernelILb1ELi512EPKdPdEv18rocblas_operation_bbiT1_llT2_lll.num_named_barrier, 0
	.set _ZL19rocblas_tpsv_kernelILb1ELi512EPKdPdEv18rocblas_operation_bbiT1_llT2_lll.private_seg_size, 0
	.set _ZL19rocblas_tpsv_kernelILb1ELi512EPKdPdEv18rocblas_operation_bbiT1_llT2_lll.uses_vcc, 1
	.set _ZL19rocblas_tpsv_kernelILb1ELi512EPKdPdEv18rocblas_operation_bbiT1_llT2_lll.uses_flat_scratch, 0
	.set _ZL19rocblas_tpsv_kernelILb1ELi512EPKdPdEv18rocblas_operation_bbiT1_llT2_lll.has_dyn_sized_stack, 0
	.set _ZL19rocblas_tpsv_kernelILb1ELi512EPKdPdEv18rocblas_operation_bbiT1_llT2_lll.has_recursion, 0
	.set _ZL19rocblas_tpsv_kernelILb1ELi512EPKdPdEv18rocblas_operation_bbiT1_llT2_lll.has_indirect_call, 0
	.section	.AMDGPU.csdata,"",@progbits
; Kernel info:
; codeLenInByte = 6416
; TotalNumSgprs: 68
; NumVgprs: 30
; ScratchSize: 0
; MemoryBound: 0
; FloatMode: 240
; IeeeMode: 1
; LDSByteSize: 16384 bytes/workgroup (compile time only)
; SGPRBlocks: 8
; VGPRBlocks: 7
; NumSGPRsForWavesPerEU: 68
; NumVGPRsForWavesPerEU: 30
; Occupancy: 8
; WaveLimiterHint : 0
; COMPUTE_PGM_RSRC2:SCRATCH_EN: 0
; COMPUTE_PGM_RSRC2:USER_SGPR: 6
; COMPUTE_PGM_RSRC2:TRAP_HANDLER: 0
; COMPUTE_PGM_RSRC2:TGID_X_EN: 1
; COMPUTE_PGM_RSRC2:TGID_Y_EN: 0
; COMPUTE_PGM_RSRC2:TGID_Z_EN: 0
; COMPUTE_PGM_RSRC2:TIDIG_COMP_CNT: 0
	.section	.text._ZL19rocblas_tpsv_kernelILb0ELi512EPKdPdEv18rocblas_operation_bbiT1_llT2_lll,"axG",@progbits,_ZL19rocblas_tpsv_kernelILb0ELi512EPKdPdEv18rocblas_operation_bbiT1_llT2_lll,comdat
	.globl	_ZL19rocblas_tpsv_kernelILb0ELi512EPKdPdEv18rocblas_operation_bbiT1_llT2_lll ; -- Begin function _ZL19rocblas_tpsv_kernelILb0ELi512EPKdPdEv18rocblas_operation_bbiT1_llT2_lll
	.p2align	8
	.type	_ZL19rocblas_tpsv_kernelILb0ELi512EPKdPdEv18rocblas_operation_bbiT1_llT2_lll,@function
_ZL19rocblas_tpsv_kernelILb0ELi512EPKdPdEv18rocblas_operation_bbiT1_llT2_lll: ; @_ZL19rocblas_tpsv_kernelILb0ELi512EPKdPdEv18rocblas_operation_bbiT1_llT2_lll
; %bb.0:
	s_load_dwordx2 s[26:27], s[4:5], 0x0
	s_load_dwordx2 s[16:17], s[4:5], 0x4
	;; [unrolled: 1-line block ×3, first 2 shown]
	s_load_dwordx4 s[0:3], s[4:5], 0x18
	s_load_dwordx2 s[28:29], s[4:5], 0x28
	s_waitcnt lgkmcnt(0)
	s_bitcmp1_b32 s27, 0
	s_cselect_b64 s[8:9], -1, 0
	s_xor_b64 s[22:23], s[8:9], -1
	s_bitcmp1_b32 s16, 8
	s_load_dwordx4 s[8:11], s[4:5], 0x30
	s_load_dwordx2 s[30:31], s[4:5], 0x40
	s_mul_i32 s3, s3, s6
	s_mul_hi_u32 s4, s2, s6
	s_cselect_b64 s[12:13], -1, 0
	s_add_i32 s3, s4, s3
	s_mul_i32 s2, s2, s6
	s_lshl_b64 s[20:21], s[2:3], 3
	s_add_u32 s2, s18, s20
	s_addc_u32 s3, s19, s21
	s_lshl_b64 s[24:25], s[0:1], 3
	s_add_u32 s14, s2, s24
	s_waitcnt lgkmcnt(0)
	s_mul_i32 s0, s31, s6
	s_mul_hi_u32 s1, s30, s6
	s_addc_u32 s15, s3, s25
	s_add_i32 s1, s1, s0
	s_mul_i32 s0, s30, s6
	s_lshl_b64 s[0:1], s[0:1], 3
	s_add_u32 s2, s28, s0
	s_addc_u32 s3, s29, s1
	s_lshl_b64 s[0:1], s[8:9], 3
	s_add_u32 s33, s2, s0
	s_addc_u32 s56, s3, s1
	s_cmp_gt_i32 s17, 0
	s_cselect_b64 s[6:7], -1, 0
	s_cmpk_lg_i32 s26, 0x6f
	s_mov_b64 s[0:1], -1
	s_cbranch_scc0 .LBB3_93
; %bb.1:
	s_and_b64 vcc, exec, s[22:23]
	s_cbranch_vccz .LBB3_44
; %bb.2:
	s_andn2_b64 vcc, exec, s[6:7]
	s_cbranch_vccnz .LBB3_43
; %bb.3:
	s_lshl_b32 s2, s17, 1
	s_add_i32 s30, s17, 0xfffffe00
	s_or_b32 s16, s2, 1
	s_add_u32 s3, s20, s24
	s_addc_u32 s4, s21, s25
	s_ashr_i32 s1, s17, 31
	s_mov_b32 s0, s17
	s_lshl_b64 s[0:1], s[0:1], 3
	s_add_u32 s0, s3, s0
	s_addc_u32 s1, s4, s1
	s_add_u32 s0, s18, s0
	v_mov_b32_e32 v1, 0x1000
	s_addc_u32 s1, s19, s1
	v_lshl_or_b32 v17, v0, 3, v1
	s_add_u32 s4, s0, 0xfffff000
	v_add_u32_e32 v1, s17, v0
	v_xor_b32_e32 v18, 0x1ff, v0
	s_addc_u32 s5, s1, -1
	v_add_u32_e32 v19, 0xfffffc00, v1
	s_ashr_i32 s36, s2, 31
	v_mov_b32_e32 v2, 0
	v_mov_b32_e32 v20, s15
	s_movk_i32 s37, 0x400
	s_movk_i32 s38, 0x401
	;; [unrolled: 1-line block ×4, first 2 shown]
	s_xor_b64 s[8:9], s[12:13], -1
	s_movk_i32 s41, 0x1000
	s_branch .LBB3_5
.LBB3_4:                                ;   in Loop: Header=BB3_5 Depth=1
	s_or_b64 exec, exec, s[26:27]
	s_add_u32 s4, s4, 0xfffff000
	s_addc_u32 s5, s5, -1
	v_add_u32_e32 v19, 0xfffffe00, v19
	s_andn2_b64 vcc, exec, s[2:3]
	s_mov_b32 s30, s42
	s_waitcnt vmcnt(0)
	s_barrier
	s_cbranch_vccz .LBB3_43
.LBB3_5:                                ; =>This Loop Header: Depth=1
                                        ;     Child Loop BB3_9 Depth 2
                                        ;     Child Loop BB3_21 Depth 2
                                        ;       Child Loop BB3_24 Depth 3
	v_add_u32_e32 v21, s30, v0
	v_cmp_gt_i32_e64 s[2:3], 0, v21
	v_cmp_lt_i32_e64 s[0:1], -1, v21
	s_and_saveexec_b64 s[26:27], s[0:1]
	s_cbranch_execz .LBB3_7
; %bb.6:                                ;   in Loop: Header=BB3_5 Depth=1
	v_mad_u64_u32 v[3:4], s[28:29], s10, v21, 0
	v_mov_b32_e32 v1, v4
	v_mad_u64_u32 v[4:5], s[28:29], s11, v21, v[1:2]
	v_mov_b32_e32 v1, s56
	v_lshlrev_b64 v[3:4], 3, v[3:4]
	v_add_co_u32_e32 v3, vcc, s33, v3
	v_addc_co_u32_e32 v4, vcc, v1, v4, vcc
	global_load_dwordx2 v[3:4], v[3:4], off
	s_waitcnt vmcnt(0)
	ds_write_b64 v17, v[3:4]
.LBB3_7:                                ;   in Loop: Header=BB3_5 Depth=1
	s_or_b64 exec, exec, s[26:27]
	v_sub_u32_e32 v1, s16, v21
	v_mad_u64_u32 v[3:4], s[26:27], v21, v1, 0
	v_ashrrev_i32_e32 v5, 31, v1
	s_not_b32 s31, s30
	v_mov_b32_e32 v1, v4
	v_mad_u64_u32 v[4:5], s[26:27], v21, v5, v[1:2]
	s_or_b64 s[26:27], s[12:13], s[2:3]
	s_movk_i32 s34, 0x1ff
	v_lshlrev_b64 v[3:4], 2, v[3:4]
	s_movk_i32 s35, 0x1ff0
	v_and_b32_e32 v1, -8, v3
	v_add_co_u32_e32 v3, vcc, s14, v1
	v_addc_co_u32_e32 v4, vcc, v20, v4, vcc
	s_xor_b64 s[26:27], s[26:27], -1
	v_mov_b32_e32 v1, v18
	s_waitcnt lgkmcnt(0)
	s_barrier
	s_branch .LBB3_9
.LBB3_8:                                ;   in Loop: Header=BB3_9 Depth=2
	s_or_b64 exec, exec, s[28:29]
	s_add_i32 s34, s34, -2
	s_add_i32 s35, s35, -16
	s_cmp_eq_u32 s42, 0
	v_add_u32_e32 v1, -2, v1
	s_cbranch_scc1 .LBB3_17
.LBB3_9:                                ;   Parent Loop BB3_5 Depth=1
                                        ; =>  This Inner Loop Header: Depth=2
	v_cmp_eq_u32_e32 vcc, 0, v1
	s_and_b64 s[42:43], vcc, s[26:27]
	s_and_saveexec_b64 s[28:29], s[42:43]
	s_cbranch_execz .LBB3_11
; %bb.10:                               ;   in Loop: Header=BB3_9 Depth=2
	global_load_dwordx2 v[5:6], v[3:4], off
	ds_read_b64 v[7:8], v17
	s_waitcnt vmcnt(0) lgkmcnt(0)
	v_div_scale_f64 v[9:10], s[42:43], v[5:6], v[5:6], v[7:8]
	v_div_scale_f64 v[15:16], vcc, v[7:8], v[5:6], v[7:8]
	v_rcp_f64_e32 v[11:12], v[9:10]
	v_fma_f64 v[13:14], -v[9:10], v[11:12], 1.0
	v_fma_f64 v[11:12], v[11:12], v[13:14], v[11:12]
	v_fma_f64 v[13:14], -v[9:10], v[11:12], 1.0
	v_fma_f64 v[11:12], v[11:12], v[13:14], v[11:12]
	v_mul_f64 v[13:14], v[15:16], v[11:12]
	v_fma_f64 v[9:10], -v[9:10], v[13:14], v[15:16]
	v_div_fmas_f64 v[9:10], v[9:10], v[11:12], v[13:14]
	v_div_fixup_f64 v[5:6], v[9:10], v[5:6], v[7:8]
	ds_write_b64 v17, v[5:6]
.LBB3_11:                               ;   in Loop: Header=BB3_9 Depth=2
	s_or_b64 exec, exec, s[28:29]
	s_cmp_le_i32 s34, s31
	v_cmp_le_u32_e32 vcc, s34, v0
	s_cselect_b64 s[28:29], -1, 0
	s_or_b64 s[28:29], vcc, s[28:29]
	s_nor_b64 s[42:43], s[2:3], s[28:29]
	s_waitcnt lgkmcnt(0)
	s_barrier
	s_and_saveexec_b64 s[28:29], s[42:43]
	s_cbranch_execz .LBB3_13
; %bb.12:                               ;   in Loop: Header=BB3_9 Depth=2
	v_lshlrev_b64 v[5:6], 3, v[1:2]
	v_mov_b32_e32 v7, s35
	v_add_co_u32_e32 v5, vcc, v3, v5
	v_addc_co_u32_e32 v6, vcc, v4, v6, vcc
	global_load_dwordx2 v[5:6], v[5:6], off
	ds_read_b64 v[7:8], v7 offset:8
	ds_read_b64 v[9:10], v17
	s_waitcnt vmcnt(0) lgkmcnt(0)
	v_fma_f64 v[5:6], -v[5:6], v[7:8], v[9:10]
	ds_write_b64 v17, v[5:6]
.LBB3_13:                               ;   in Loop: Header=BB3_9 Depth=2
	s_or_b64 exec, exec, s[28:29]
	s_add_i32 s42, s34, -1
	v_cmp_eq_u32_e32 vcc, s42, v0
	s_and_b64 s[44:45], vcc, s[26:27]
	s_and_saveexec_b64 s[28:29], s[44:45]
	s_cbranch_execz .LBB3_15
; %bb.14:                               ;   in Loop: Header=BB3_9 Depth=2
	global_load_dwordx2 v[5:6], v[3:4], off
	ds_read_b64 v[7:8], v17
	s_waitcnt vmcnt(0) lgkmcnt(0)
	v_div_scale_f64 v[9:10], s[44:45], v[5:6], v[5:6], v[7:8]
	v_div_scale_f64 v[15:16], vcc, v[7:8], v[5:6], v[7:8]
	v_rcp_f64_e32 v[11:12], v[9:10]
	v_fma_f64 v[13:14], -v[9:10], v[11:12], 1.0
	v_fma_f64 v[11:12], v[11:12], v[13:14], v[11:12]
	v_fma_f64 v[13:14], -v[9:10], v[11:12], 1.0
	v_fma_f64 v[11:12], v[11:12], v[13:14], v[11:12]
	v_mul_f64 v[13:14], v[15:16], v[11:12]
	v_fma_f64 v[9:10], -v[9:10], v[13:14], v[15:16]
	v_div_fmas_f64 v[9:10], v[9:10], v[11:12], v[13:14]
	v_div_fixup_f64 v[5:6], v[9:10], v[5:6], v[7:8]
	ds_write_b64 v17, v[5:6]
.LBB3_15:                               ;   in Loop: Header=BB3_9 Depth=2
	s_or_b64 exec, exec, s[28:29]
	s_cmp_le_i32 s42, s31
	v_cmp_le_u32_e32 vcc, s42, v0
	s_cselect_b64 s[28:29], -1, 0
	s_or_b64 s[28:29], vcc, s[28:29]
	s_nor_b64 s[44:45], s[2:3], s[28:29]
	s_waitcnt lgkmcnt(0)
	s_barrier
	s_and_saveexec_b64 s[28:29], s[44:45]
	s_cbranch_execz .LBB3_8
; %bb.16:                               ;   in Loop: Header=BB3_9 Depth=2
	v_add_u32_e32 v5, -1, v1
	v_mov_b32_e32 v6, v2
	v_lshlrev_b64 v[5:6], 3, v[5:6]
	v_mov_b32_e32 v7, s35
	v_add_co_u32_e32 v5, vcc, v3, v5
	v_addc_co_u32_e32 v6, vcc, v4, v6, vcc
	global_load_dwordx2 v[5:6], v[5:6], off
	ds_read_b64 v[7:8], v7
	ds_read_b64 v[9:10], v17
	s_waitcnt vmcnt(0) lgkmcnt(0)
	v_fma_f64 v[5:6], -v[5:6], v[7:8], v[9:10]
	ds_write_b64 v17, v[5:6]
	s_branch .LBB3_8
.LBB3_17:                               ;   in Loop: Header=BB3_5 Depth=1
	s_add_i32 s42, s30, 0xfffffe00
	s_cmp_lt_i32 s30, 1
	s_cselect_b64 s[2:3], -1, 0
	s_and_b64 vcc, exec, s[2:3]
	s_waitcnt lgkmcnt(0)
	s_barrier
	s_cbranch_vccnz .LBB3_41
; %bb.18:                               ;   in Loop: Header=BB3_5 Depth=1
	v_mad_i64_i32 v[3:4], s[26:27], v19, -8, s[4:5]
	v_ashrrev_i32_e32 v5, 31, v19
	v_mov_b32_e32 v6, s36
	v_sub_co_u32_e32 v1, vcc, s16, v19
	v_subb_co_u32_e32 v22, vcc, v6, v5, vcc
	s_mov_b64 s[26:27], 0
	v_mov_b32_e32 v23, v19
	v_mov_b32_e32 v24, v0
	s_mov_b32 s43, s42
                                        ; implicit-def: $sgpr28_sgpr29
	s_branch .LBB3_21
.LBB3_19:                               ;   in Loop: Header=BB3_21 Depth=2
	v_mad_u64_u32 v[7:8], s[34:35], s10, v25, 0
	s_add_i32 s44, s43, 0xfffffe00
	s_cmp_lt_i32 s43, 1
	v_mad_u64_u32 v[8:9], s[34:35], s11, v25, v[8:9]
	v_mov_b32_e32 v9, s56
	s_cselect_b64 s[34:35], -1, 0
	v_lshlrev_b64 v[7:8], 3, v[7:8]
	s_andn2_b64 s[28:29], s[28:29], exec
	v_add_co_u32_e32 v7, vcc, s33, v7
	v_addc_co_u32_e32 v8, vcc, v9, v8, vcc
	global_load_dwordx2 v[9:10], v[7:8], off
	v_add_co_u32_e32 v3, vcc, s41, v3
	v_addc_co_u32_e32 v4, vcc, 0, v4, vcc
	v_add_co_u32_e32 v1, vcc, 0x200, v1
	s_and_b64 s[34:35], s[34:35], exec
	v_add_u32_e32 v24, 0xfffffe00, v24
	v_add_u32_e32 v23, 0xfffffe00, v23
	v_addc_co_u32_e32 v22, vcc, 0, v22, vcc
	s_or_b64 s[28:29], s[28:29], s[34:35]
	s_mov_b32 s43, s44
	s_waitcnt vmcnt(0)
	v_add_f64 v[5:6], v[9:10], -v[5:6]
	global_store_dwordx2 v[7:8], v[5:6], off
.LBB3_20:                               ;   in Loop: Header=BB3_21 Depth=2
	s_or_b64 exec, exec, s[30:31]
	s_and_b64 s[30:31], exec, s[28:29]
	s_or_b64 s[26:27], s[30:31], s[26:27]
	s_andn2_b64 exec, exec, s[26:27]
	s_cbranch_execz .LBB3_40
.LBB3_21:                               ;   Parent Loop BB3_5 Depth=1
                                        ; =>  This Loop Header: Depth=2
                                        ;       Child Loop BB3_24 Depth 3
	v_add_u32_e32 v25, s43, v0
	v_cmp_lt_i32_e32 vcc, -1, v25
	s_or_b64 s[28:29], s[28:29], exec
	s_and_saveexec_b64 s[30:31], vcc
	s_cbranch_execz .LBB3_20
; %bb.22:                               ;   in Loop: Header=BB3_21 Depth=2
	v_mad_u64_u32 v[7:8], s[34:35], v1, v23, 0
	s_movk_i32 s44, 0x1000
	s_movk_i32 s45, 0x200
	v_mov_b32_e32 v5, v8
	v_mad_u64_u32 v[8:9], s[34:35], v22, v23, v[5:6]
	v_mov_b32_e32 v5, 0
	v_mov_b32_e32 v6, 0
	v_lshlrev_b64 v[7:8], 2, v[7:8]
	v_and_b32_e32 v7, -8, v7
	v_add_co_u32_e32 v7, vcc, v3, v7
	v_addc_co_u32_e32 v8, vcc, v4, v8, vcc
	s_branch .LBB3_24
.LBB3_23:                               ;   in Loop: Header=BB3_24 Depth=3
	s_or_b64 exec, exec, s[34:35]
	s_waitcnt lgkmcnt(0)
	v_add_f64 v[5:6], v[5:6], v[9:10]
	s_add_i32 s44, s44, 32
	s_add_i32 s45, s45, -4
	v_add_co_u32_e32 v7, vcc, 32, v7
	s_cmp_eq_u32 s45, 0
	v_addc_co_u32_e32 v8, vcc, 0, v8, vcc
	v_add_f64 v[5:6], v[5:6], v[11:12]
	v_add_f64 v[5:6], v[5:6], v[13:14]
	;; [unrolled: 1-line block ×3, first 2 shown]
	s_cbranch_scc1 .LBB3_19
.LBB3_24:                               ;   Parent Loop BB3_5 Depth=1
                                        ;     Parent Loop BB3_21 Depth=2
                                        ; =>    This Inner Loop Header: Depth=3
	v_add_u32_e32 v15, s45, v24
	v_cmp_ne_u32_e32 vcc, s37, v15
	s_or_b64 s[34:35], s[8:9], vcc
                                        ; implicit-def: $vgpr9_vgpr10
	s_and_saveexec_b64 s[46:47], s[34:35]
	s_xor_b64 s[34:35], exec, s[46:47]
	s_cbranch_execz .LBB3_26
; %bb.25:                               ;   in Loop: Header=BB3_24 Depth=3
	global_load_dwordx2 v[9:10], v[7:8], off
	v_mov_b32_e32 v11, s44
	ds_read_b64 v[11:12], v11
	s_waitcnt vmcnt(0) lgkmcnt(0)
	v_mul_f64 v[9:10], v[9:10], v[11:12]
.LBB3_26:                               ;   in Loop: Header=BB3_24 Depth=3
	s_andn2_saveexec_b64 s[34:35], s[34:35]
; %bb.27:                               ;   in Loop: Header=BB3_24 Depth=3
	v_mov_b32_e32 v9, s44
	ds_read_b64 v[9:10], v9
; %bb.28:                               ;   in Loop: Header=BB3_24 Depth=3
	s_or_b64 exec, exec, s[34:35]
	v_cmp_ne_u32_e32 vcc, s38, v15
	s_or_b64 s[34:35], s[8:9], vcc
                                        ; implicit-def: $vgpr11_vgpr12
	s_and_saveexec_b64 s[46:47], s[34:35]
	s_xor_b64 s[34:35], exec, s[46:47]
	s_cbranch_execz .LBB3_30
; %bb.29:                               ;   in Loop: Header=BB3_24 Depth=3
	global_load_dwordx2 v[11:12], v[7:8], off offset:8
	v_mov_b32_e32 v13, s44
	ds_read_b64 v[13:14], v13 offset:8
	s_waitcnt vmcnt(0) lgkmcnt(0)
	v_mul_f64 v[11:12], v[11:12], v[13:14]
.LBB3_30:                               ;   in Loop: Header=BB3_24 Depth=3
	s_andn2_saveexec_b64 s[34:35], s[34:35]
; %bb.31:                               ;   in Loop: Header=BB3_24 Depth=3
	v_mov_b32_e32 v11, s44
	ds_read_b64 v[11:12], v11 offset:8
; %bb.32:                               ;   in Loop: Header=BB3_24 Depth=3
	s_or_b64 exec, exec, s[34:35]
	v_cmp_ne_u32_e32 vcc, s39, v15
	s_or_b64 s[34:35], s[8:9], vcc
                                        ; implicit-def: $vgpr13_vgpr14
	s_and_saveexec_b64 s[46:47], s[34:35]
	s_xor_b64 s[34:35], exec, s[46:47]
	s_cbranch_execz .LBB3_34
; %bb.33:                               ;   in Loop: Header=BB3_24 Depth=3
	global_load_dwordx2 v[13:14], v[7:8], off offset:16
	v_mov_b32_e32 v16, s44
	ds_read_b64 v[26:27], v16 offset:16
	s_waitcnt vmcnt(0) lgkmcnt(0)
	v_mul_f64 v[13:14], v[13:14], v[26:27]
.LBB3_34:                               ;   in Loop: Header=BB3_24 Depth=3
	s_andn2_saveexec_b64 s[34:35], s[34:35]
; %bb.35:                               ;   in Loop: Header=BB3_24 Depth=3
	v_mov_b32_e32 v13, s44
	ds_read_b64 v[13:14], v13 offset:16
; %bb.36:                               ;   in Loop: Header=BB3_24 Depth=3
	s_or_b64 exec, exec, s[34:35]
	v_cmp_ne_u32_e32 vcc, s40, v15
	s_or_b64 s[34:35], s[8:9], vcc
                                        ; implicit-def: $vgpr15_vgpr16
	s_and_saveexec_b64 s[46:47], s[34:35]
	s_xor_b64 s[34:35], exec, s[46:47]
	s_cbranch_execz .LBB3_38
; %bb.37:                               ;   in Loop: Header=BB3_24 Depth=3
	global_load_dwordx2 v[15:16], v[7:8], off offset:24
	v_mov_b32_e32 v26, s44
	ds_read_b64 v[26:27], v26 offset:24
	s_waitcnt vmcnt(0) lgkmcnt(0)
	v_mul_f64 v[15:16], v[15:16], v[26:27]
.LBB3_38:                               ;   in Loop: Header=BB3_24 Depth=3
	s_andn2_saveexec_b64 s[34:35], s[34:35]
	s_cbranch_execz .LBB3_23
; %bb.39:                               ;   in Loop: Header=BB3_24 Depth=3
	v_mov_b32_e32 v15, s44
	ds_read_b64 v[15:16], v15 offset:24
	s_branch .LBB3_23
.LBB3_40:                               ;   in Loop: Header=BB3_5 Depth=1
	s_or_b64 exec, exec, s[26:27]
.LBB3_41:                               ;   in Loop: Header=BB3_5 Depth=1
	s_and_saveexec_b64 s[26:27], s[0:1]
	s_cbranch_execz .LBB3_4
; %bb.42:                               ;   in Loop: Header=BB3_5 Depth=1
	v_mad_u64_u32 v[3:4], s[0:1], s10, v21, 0
	v_mov_b32_e32 v1, v4
	v_mad_u64_u32 v[4:5], s[0:1], s11, v21, v[1:2]
	ds_read_b64 v[5:6], v17
	v_mov_b32_e32 v1, s56
	v_lshlrev_b64 v[3:4], 3, v[3:4]
	v_add_co_u32_e32 v3, vcc, s33, v3
	v_addc_co_u32_e32 v4, vcc, v1, v4, vcc
	s_waitcnt lgkmcnt(0)
	global_store_dwordx2 v[3:4], v[5:6], off
	s_branch .LBB3_4
.LBB3_43:
	s_mov_b64 s[0:1], 0
.LBB3_44:
	s_andn2_b64 vcc, exec, s[0:1]
	s_cbranch_vccnz .LBB3_92
; %bb.45:
	s_andn2_b64 vcc, exec, s[6:7]
	s_cbranch_vccnz .LBB3_92
; %bb.46:
	v_mov_b32_e32 v2, 0
	v_mov_b32_e32 v1, v2
	v_mad_u64_u32 v[3:4], s[0:1], v0, v0, v[0:1]
	v_lshlrev_b32_e32 v1, 10, v0
	v_add_co_u32_e32 v7, vcc, 0x40200, v1
	v_or_b32_e32 v1, 0x200, v0
	v_mov_b32_e32 v6, v2
	v_lshlrev_b32_e32 v15, 3, v0
	v_addc_co_u32_e64 v8, s[0:1], 0, 0, vcc
	s_mov_b32 s16, 0
	v_add_u32_e32 v16, 0x201, v0
	v_mov_b32_e32 v17, s15
	s_xor_b64 s[8:9], s[12:13], -1
	v_mov_b32_e32 v5, v1
	s_mov_b64 s[26:27], s[14:15]
	s_branch .LBB3_48
.LBB3_47:                               ;   in Loop: Header=BB3_48 Depth=1
	s_or_b64 exec, exec, s[4:5]
	v_add_co_u32_e32 v9, vcc, 0x80000, v7
	v_addc_co_u32_e32 v10, vcc, 0, v8, vcc
	v_add_co_u32_e32 v3, vcc, v3, v7
	v_addc_co_u32_e32 v4, vcc, v4, v8, vcc
	v_add_co_u32_e32 v5, vcc, 0x200, v5
	s_add_u32 s26, s26, 0x1000
	v_addc_co_u32_e32 v6, vcc, 0, v6, vcc
	v_mov_b32_e32 v7, v9
	s_addc_u32 s27, s27, 0
	v_add_u32_e32 v16, 0x200, v16
	s_and_b64 vcc, exec, s[2:3]
	v_mov_b32_e32 v8, v10
	s_mov_b32 s16, s36
	s_waitcnt vmcnt(0)
	s_barrier
	s_cbranch_vccnz .LBB3_92
.LBB3_48:                               ; =>This Loop Header: Depth=1
                                        ;     Child Loop BB3_52 Depth 2
                                        ;     Child Loop BB3_66 Depth 2
                                        ;       Child Loop BB3_69 Depth 3
	v_add_u32_e32 v18, s16, v0
	v_cmp_le_i32_e32 vcc, s17, v18
	v_cmp_gt_i32_e64 s[0:1], s17, v18
	s_and_saveexec_b64 s[4:5], s[0:1]
	s_cbranch_execz .LBB3_50
; %bb.49:                               ;   in Loop: Header=BB3_48 Depth=1
	v_mad_u64_u32 v[9:10], s[2:3], s10, v18, 0
	v_mov_b32_e32 v1, v10
	v_mad_u64_u32 v[10:11], s[2:3], s11, v18, v[1:2]
	v_mov_b32_e32 v1, s56
	v_lshlrev_b64 v[9:10], 3, v[9:10]
	v_add_co_u32_e64 v9, s[2:3], s33, v9
	v_addc_co_u32_e64 v10, s[2:3], v1, v10, s[2:3]
	global_load_dwordx2 v[9:10], v[9:10], off
	s_waitcnt vmcnt(0)
	ds_write_b64 v15, v[9:10]
.LBB3_50:                               ;   in Loop: Header=BB3_48 Depth=1
	s_or_b64 exec, exec, s[4:5]
	v_lshlrev_b64 v[9:10], 2, v[3:4]
	v_mov_b32_e32 v19, s27
	v_and_b32_e32 v1, -8, v9
	v_add_co_u32_e64 v9, s[2:3], s26, v1
	v_or_b32_e32 v1, s16, v0
	v_add_u32_e32 v11, 1, v1
	v_addc_co_u32_e64 v10, s[2:3], v19, v10, s[2:3]
	v_mad_u64_u32 v[11:12], s[2:3], v11, v1, 0
	v_lshlrev_b64 v[13:14], 3, v[1:2]
	v_cmp_le_i32_e64 s[2:3], s17, v1
	v_lshlrev_b64 v[11:12], 2, v[11:12]
	v_add_co_u32_e64 v1, s[4:5], s14, v13
	v_addc_co_u32_e64 v13, s[4:5], v17, v14, s[4:5]
	v_and_b32_e32 v11, -8, v11
	v_add_co_u32_e64 v11, s[4:5], v1, v11
	v_addc_co_u32_e64 v12, s[4:5], v13, v12, s[4:5]
	s_mov_b32 s30, 0
	s_xor_b64 s[4:5], vcc, -1
	s_mov_b32 s31, 0
	s_waitcnt lgkmcnt(0)
	s_barrier
	s_branch .LBB3_52
.LBB3_51:                               ;   in Loop: Header=BB3_52 Depth=2
	s_or_b64 exec, exec, s[28:29]
	s_add_i32 s30, s30, 16
	s_add_i32 s31, s34, 1
	v_add_co_u32_e32 v9, vcc, 16, v9
	s_cmpk_eq_i32 s31, 0x200
	v_addc_co_u32_e32 v10, vcc, 0, v10, vcc
	s_cbranch_scc1 .LBB3_62
.LBB3_52:                               ;   Parent Loop BB3_48 Depth=1
                                        ; =>  This Inner Loop Header: Depth=2
	v_cmp_ne_u32_e32 vcc, s31, v0
	s_or_b64 s[28:29], s[12:13], vcc
	s_nor_b64 s[34:35], s[28:29], s[2:3]
	s_and_saveexec_b64 s[28:29], s[34:35]
	s_cbranch_execz .LBB3_54
; %bb.53:                               ;   in Loop: Header=BB3_52 Depth=2
	global_load_dwordx2 v[13:14], v[11:12], off
	ds_read_b64 v[20:21], v15
	s_waitcnt vmcnt(0) lgkmcnt(0)
	v_div_scale_f64 v[22:23], s[34:35], v[13:14], v[13:14], v[20:21]
	v_div_scale_f64 v[28:29], vcc, v[20:21], v[13:14], v[20:21]
	v_rcp_f64_e32 v[24:25], v[22:23]
	v_fma_f64 v[26:27], -v[22:23], v[24:25], 1.0
	v_fma_f64 v[24:25], v[24:25], v[26:27], v[24:25]
	v_fma_f64 v[26:27], -v[22:23], v[24:25], 1.0
	v_fma_f64 v[24:25], v[24:25], v[26:27], v[24:25]
	v_mul_f64 v[26:27], v[28:29], v[24:25]
	v_fma_f64 v[22:23], -v[22:23], v[26:27], v[28:29]
	v_div_fmas_f64 v[22:23], v[22:23], v[24:25], v[26:27]
	v_div_fixup_f64 v[13:14], v[22:23], v[13:14], v[20:21]
	ds_write_b64 v15, v[13:14]
.LBB3_54:                               ;   in Loop: Header=BB3_52 Depth=2
	s_or_b64 exec, exec, s[28:29]
	v_cmp_lt_u32_e32 vcc, s31, v0
	s_waitcnt lgkmcnt(0)
	s_barrier
	s_and_saveexec_b64 s[28:29], vcc
	s_cbranch_execz .LBB3_57
; %bb.55:                               ;   in Loop: Header=BB3_52 Depth=2
	s_add_i32 s34, s16, s31
	s_cmp_lt_i32 s34, s17
	s_cselect_b64 s[34:35], -1, 0
	s_and_b64 s[34:35], s[4:5], s[34:35]
	s_and_b64 exec, exec, s[34:35]
	s_cbranch_execz .LBB3_57
; %bb.56:                               ;   in Loop: Header=BB3_52 Depth=2
	global_load_dwordx2 v[13:14], v[9:10], off
	v_mov_b32_e32 v1, s30
	ds_read_b64 v[20:21], v1
	ds_read_b64 v[22:23], v15
	s_waitcnt vmcnt(0) lgkmcnt(0)
	v_fma_f64 v[13:14], -v[13:14], v[20:21], v[22:23]
	ds_write_b64 v15, v[13:14]
.LBB3_57:                               ;   in Loop: Header=BB3_52 Depth=2
	s_or_b64 exec, exec, s[28:29]
	s_add_i32 s34, s31, 1
	v_cmp_ne_u32_e32 vcc, s34, v0
	s_or_b64 s[28:29], s[12:13], vcc
	s_nor_b64 s[36:37], s[28:29], s[2:3]
	s_and_saveexec_b64 s[28:29], s[36:37]
	s_cbranch_execz .LBB3_59
; %bb.58:                               ;   in Loop: Header=BB3_52 Depth=2
	global_load_dwordx2 v[13:14], v[11:12], off
	ds_read_b64 v[20:21], v15
	s_waitcnt vmcnt(0) lgkmcnt(0)
	v_div_scale_f64 v[22:23], s[36:37], v[13:14], v[13:14], v[20:21]
	v_div_scale_f64 v[28:29], vcc, v[20:21], v[13:14], v[20:21]
	v_rcp_f64_e32 v[24:25], v[22:23]
	v_fma_f64 v[26:27], -v[22:23], v[24:25], 1.0
	v_fma_f64 v[24:25], v[24:25], v[26:27], v[24:25]
	v_fma_f64 v[26:27], -v[22:23], v[24:25], 1.0
	v_fma_f64 v[24:25], v[24:25], v[26:27], v[24:25]
	v_mul_f64 v[26:27], v[28:29], v[24:25]
	v_fma_f64 v[22:23], -v[22:23], v[26:27], v[28:29]
	v_div_fmas_f64 v[22:23], v[22:23], v[24:25], v[26:27]
	v_div_fixup_f64 v[13:14], v[22:23], v[13:14], v[20:21]
	ds_write_b64 v15, v[13:14]
.LBB3_59:                               ;   in Loop: Header=BB3_52 Depth=2
	s_or_b64 exec, exec, s[28:29]
	v_cmp_lt_u32_e32 vcc, s34, v0
	s_waitcnt lgkmcnt(0)
	s_barrier
	s_and_saveexec_b64 s[28:29], vcc
	s_cbranch_execz .LBB3_51
; %bb.60:                               ;   in Loop: Header=BB3_52 Depth=2
	s_add_i32 s31, s16, s31
	s_add_i32 s31, s31, 1
	s_cmp_lt_i32 s31, s17
	s_cselect_b64 s[36:37], -1, 0
	s_and_b64 s[36:37], s[4:5], s[36:37]
	s_and_b64 exec, exec, s[36:37]
	s_cbranch_execz .LBB3_51
; %bb.61:                               ;   in Loop: Header=BB3_52 Depth=2
	global_load_dwordx2 v[13:14], v[9:10], off offset:8
	v_mov_b32_e32 v1, s30
	ds_read_b64 v[20:21], v1 offset:8
	ds_read_b64 v[22:23], v15
	s_waitcnt vmcnt(0) lgkmcnt(0)
	v_fma_f64 v[13:14], -v[13:14], v[20:21], v[22:23]
	ds_write_b64 v15, v[13:14]
	s_branch .LBB3_51
.LBB3_62:                               ;   in Loop: Header=BB3_48 Depth=1
	s_add_i32 s36, s16, 0x200
	s_cmp_ge_i32 s36, s17
	s_cselect_b64 s[2:3], -1, 0
	s_and_b64 vcc, exec, s[2:3]
	s_waitcnt lgkmcnt(0)
	s_barrier
	s_cbranch_vccnz .LBB3_90
; %bb.63:                               ;   in Loop: Header=BB3_48 Depth=1
	v_mov_b32_e32 v10, v6
	s_mov_b64 s[4:5], 0
	v_mov_b32_e32 v1, v16
	v_mov_b32_e32 v9, v5
	;; [unrolled: 1-line block ×3, first 2 shown]
	s_mov_b32 s37, s36
                                        ; implicit-def: $sgpr28_sgpr29
	s_branch .LBB3_66
.LBB3_64:                               ;   in Loop: Header=BB3_66 Depth=2
	v_mad_u64_u32 v[13:14], s[34:35], s10, v21, 0
	s_addk_i32 s37, 0x200
	s_cmp_ge_i32 s37, s17
	v_mad_u64_u32 v[21:22], s[34:35], s11, v21, v[14:15]
	v_mov_b32_e32 v22, s56
	s_cselect_b64 s[34:35], -1, 0
	v_mov_b32_e32 v14, v21
	v_lshlrev_b64 v[13:14], 3, v[13:14]
	s_andn2_b64 s[28:29], s[28:29], exec
	v_add_co_u32_e32 v13, vcc, s33, v13
	v_addc_co_u32_e32 v14, vcc, v22, v14, vcc
	global_load_dwordx2 v[21:22], v[13:14], off
	v_add_co_u32_e32 v9, vcc, 0x200, v9
	s_and_b64 s[34:35], s[34:35], exec
	v_add_u32_e32 v1, 0x200, v1
	v_addc_co_u32_e32 v10, vcc, 0, v10, vcc
	s_or_b64 s[28:29], s[28:29], s[34:35]
	s_waitcnt vmcnt(0)
	v_add_f64 v[11:12], v[21:22], -v[11:12]
	global_store_dwordx2 v[13:14], v[11:12], off
.LBB3_65:                               ;   in Loop: Header=BB3_66 Depth=2
	s_or_b64 exec, exec, s[30:31]
	s_and_b64 s[30:31], exec, s[28:29]
	s_or_b64 s[4:5], s[30:31], s[4:5]
	s_andn2_b64 exec, exec, s[4:5]
	s_cbranch_execz .LBB3_89
.LBB3_66:                               ;   Parent Loop BB3_48 Depth=1
                                        ; =>  This Loop Header: Depth=2
                                        ;       Child Loop BB3_69 Depth 3
	v_add_u32_e32 v21, s37, v0
	v_cmp_gt_i32_e32 vcc, s17, v21
	s_or_b64 s[28:29], s[28:29], exec
	s_and_saveexec_b64 s[30:31], vcc
	s_cbranch_execz .LBB3_65
; %bb.67:                               ;   in Loop: Header=BB3_66 Depth=2
	v_mad_u64_u32 v[11:12], s[34:35], v9, v1, 0
	v_add_u32_e32 v22, 0x1fd, v20
	v_add_u32_e32 v23, 0x1fe, v20
	v_mad_u64_u32 v[12:13], s[34:35], v10, v1, v[12:13]
	v_add_u32_e32 v24, 0x1ff, v20
	v_add_u32_e32 v20, 0x200, v20
	v_lshlrev_b64 v[11:12], 2, v[11:12]
	s_mov_b32 s38, 0
	v_and_b32_e32 v11, -8, v11
	v_add_co_u32_e32 v13, vcc, s26, v11
	v_addc_co_u32_e32 v14, vcc, v19, v12, vcc
	v_mov_b32_e32 v11, 0
	v_mov_b32_e32 v12, 0
	s_mov_b32 s39, 0
	s_branch .LBB3_69
.LBB3_68:                               ;   in Loop: Header=BB3_69 Depth=3
	s_or_b64 exec, exec, s[34:35]
	s_add_i32 s39, s39, 4
	s_add_i32 s38, s38, 32
	v_add_co_u32_e32 v13, vcc, 32, v13
	s_cmpk_eq_i32 s39, 0x200
	v_addc_co_u32_e32 v14, vcc, 0, v14, vcc
	s_cbranch_scc1 .LBB3_64
.LBB3_69:                               ;   Parent Loop BB3_48 Depth=1
                                        ;     Parent Loop BB3_66 Depth=2
                                        ; =>    This Inner Loop Header: Depth=3
	v_cmp_ne_u32_e32 vcc, s39, v20
	s_add_i32 s40, s16, s39
	s_or_b64 s[34:35], s[8:9], vcc
	s_and_saveexec_b64 s[42:43], s[34:35]
	s_xor_b64 s[34:35], exec, s[42:43]
	s_cbranch_execz .LBB3_72
; %bb.70:                               ;   in Loop: Header=BB3_69 Depth=3
	s_cmp_ge_i32 s40, s17
	s_cbranch_scc1 .LBB3_72
; %bb.71:                               ;   in Loop: Header=BB3_69 Depth=3
	global_load_dwordx2 v[25:26], v[13:14], off
	v_mov_b32_e32 v27, s38
	ds_read_b64 v[27:28], v27
	s_waitcnt vmcnt(0) lgkmcnt(0)
	v_fma_f64 v[11:12], v[25:26], v[27:28], v[11:12]
.LBB3_72:                               ;   in Loop: Header=BB3_69 Depth=3
	s_andn2_saveexec_b64 s[34:35], s[34:35]
	s_cbranch_execz .LBB3_74
; %bb.73:                               ;   in Loop: Header=BB3_69 Depth=3
	v_mov_b32_e32 v25, s38
	ds_read_b64 v[25:26], v25
	s_waitcnt lgkmcnt(0)
	v_add_f64 v[11:12], v[11:12], v[25:26]
.LBB3_74:                               ;   in Loop: Header=BB3_69 Depth=3
	s_or_b64 exec, exec, s[34:35]
	v_cmp_ne_u32_e32 vcc, s39, v24
	s_or_b64 s[34:35], s[8:9], vcc
	s_and_saveexec_b64 s[42:43], s[34:35]
	s_xor_b64 s[34:35], exec, s[42:43]
	s_cbranch_execz .LBB3_77
; %bb.75:                               ;   in Loop: Header=BB3_69 Depth=3
	s_add_i32 s41, s40, 1
	s_cmp_ge_i32 s41, s17
	s_cbranch_scc1 .LBB3_77
; %bb.76:                               ;   in Loop: Header=BB3_69 Depth=3
	global_load_dwordx2 v[25:26], v[13:14], off offset:8
	v_mov_b32_e32 v27, s38
	ds_read_b64 v[27:28], v27 offset:8
	s_waitcnt vmcnt(0) lgkmcnt(0)
	v_fma_f64 v[11:12], v[25:26], v[27:28], v[11:12]
.LBB3_77:                               ;   in Loop: Header=BB3_69 Depth=3
	s_andn2_saveexec_b64 s[34:35], s[34:35]
	s_cbranch_execz .LBB3_79
; %bb.78:                               ;   in Loop: Header=BB3_69 Depth=3
	v_mov_b32_e32 v25, s38
	ds_read_b64 v[25:26], v25 offset:8
	s_waitcnt lgkmcnt(0)
	v_add_f64 v[11:12], v[11:12], v[25:26]
.LBB3_79:                               ;   in Loop: Header=BB3_69 Depth=3
	s_or_b64 exec, exec, s[34:35]
	v_cmp_ne_u32_e32 vcc, s39, v23
	s_or_b64 s[34:35], s[8:9], vcc
	s_and_saveexec_b64 s[42:43], s[34:35]
	s_xor_b64 s[34:35], exec, s[42:43]
	s_cbranch_execz .LBB3_82
; %bb.80:                               ;   in Loop: Header=BB3_69 Depth=3
	s_add_i32 s41, s40, 2
	s_cmp_ge_i32 s41, s17
	s_cbranch_scc1 .LBB3_82
; %bb.81:                               ;   in Loop: Header=BB3_69 Depth=3
	global_load_dwordx2 v[25:26], v[13:14], off offset:16
	v_mov_b32_e32 v27, s38
	ds_read_b64 v[27:28], v27 offset:16
	s_waitcnt vmcnt(0) lgkmcnt(0)
	v_fma_f64 v[11:12], v[25:26], v[27:28], v[11:12]
.LBB3_82:                               ;   in Loop: Header=BB3_69 Depth=3
	s_andn2_saveexec_b64 s[34:35], s[34:35]
	s_cbranch_execz .LBB3_84
; %bb.83:                               ;   in Loop: Header=BB3_69 Depth=3
	v_mov_b32_e32 v25, s38
	ds_read_b64 v[25:26], v25 offset:16
	s_waitcnt lgkmcnt(0)
	v_add_f64 v[11:12], v[11:12], v[25:26]
.LBB3_84:                               ;   in Loop: Header=BB3_69 Depth=3
	s_or_b64 exec, exec, s[34:35]
	v_cmp_ne_u32_e32 vcc, s39, v22
	s_or_b64 s[34:35], s[8:9], vcc
	s_and_saveexec_b64 s[42:43], s[34:35]
	s_xor_b64 s[34:35], exec, s[42:43]
	s_cbranch_execz .LBB3_87
; %bb.85:                               ;   in Loop: Header=BB3_69 Depth=3
	s_add_i32 s40, s40, 3
	s_cmp_ge_i32 s40, s17
	s_cbranch_scc1 .LBB3_87
; %bb.86:                               ;   in Loop: Header=BB3_69 Depth=3
	global_load_dwordx2 v[25:26], v[13:14], off offset:24
	v_mov_b32_e32 v27, s38
	ds_read_b64 v[27:28], v27 offset:24
	s_waitcnt vmcnt(0) lgkmcnt(0)
	v_fma_f64 v[11:12], v[25:26], v[27:28], v[11:12]
.LBB3_87:                               ;   in Loop: Header=BB3_69 Depth=3
	s_andn2_saveexec_b64 s[34:35], s[34:35]
	s_cbranch_execz .LBB3_68
; %bb.88:                               ;   in Loop: Header=BB3_69 Depth=3
	v_mov_b32_e32 v25, s38
	ds_read_b64 v[25:26], v25 offset:24
	s_waitcnt lgkmcnt(0)
	v_add_f64 v[11:12], v[11:12], v[25:26]
	s_branch .LBB3_68
.LBB3_89:                               ;   in Loop: Header=BB3_48 Depth=1
	s_or_b64 exec, exec, s[4:5]
.LBB3_90:                               ;   in Loop: Header=BB3_48 Depth=1
	s_and_saveexec_b64 s[4:5], s[0:1]
	s_cbranch_execz .LBB3_47
; %bb.91:                               ;   in Loop: Header=BB3_48 Depth=1
	v_mad_u64_u32 v[9:10], s[0:1], s10, v18, 0
	v_mov_b32_e32 v1, v10
	v_mad_u64_u32 v[10:11], s[0:1], s11, v18, v[1:2]
	ds_read_b64 v[11:12], v15
	v_mov_b32_e32 v1, s56
	v_lshlrev_b64 v[9:10], 3, v[9:10]
	v_add_co_u32_e32 v9, vcc, s33, v9
	v_addc_co_u32_e32 v10, vcc, v1, v10, vcc
	s_waitcnt lgkmcnt(0)
	global_store_dwordx2 v[9:10], v[11:12], off
	s_branch .LBB3_47
.LBB3_92:
	s_mov_b64 s[0:1], 0
.LBB3_93:
	s_andn2_b64 vcc, exec, s[0:1]
	s_cbranch_vccnz .LBB3_159
; %bb.94:
	s_mov_b64 s[0:1], -1
	s_and_b64 vcc, exec, s[22:23]
	s_cbranch_vccz .LBB3_129
; %bb.95:
	s_andn2_b64 vcc, exec, s[6:7]
	s_cbranch_vccnz .LBB3_128
; %bb.96:
	s_lshl_b32 s8, s17, 1
	s_or_b32 s16, s8, 1
	s_ashr_i32 s9, s8, 31
	s_add_u32 s0, s20, s24
	s_addc_u32 s1, s21, s25
	s_add_u32 s57, s18, s0
	s_addc_u32 s2, s19, s1
	s_lshl_b64 s[0:1], s[8:9], 9
	s_add_u32 s30, s0, 0xfffc0200
	s_addc_u32 s31, s1, -1
	s_add_u32 s58, s57, -8
	s_addc_u32 s59, s2, -1
	s_add_u32 s24, s0, 0xfffbfe00
	s_addc_u32 s25, s1, -1
	s_lshl_b64 s[0:1], s[8:9], 1
	s_add_u32 s18, s0, -6
	v_lshlrev_b32_e32 v16, 3, v0
	s_addc_u32 s19, s1, -1
	v_mov_b32_e32 v17, s2
	v_add_co_u32_e32 v2, vcc, s57, v16
	s_add_u32 s20, s0, -2
	v_mov_b32_e32 v1, 0
	v_addc_co_u32_e32 v3, vcc, 0, v17, vcc
	v_or_b32_e32 v18, 0x200, v0
	s_addc_u32 s21, s1, -1
	s_mov_b64 s[22:23], 0
	v_mov_b32_e32 v19, s15
	s_mov_b64 s[26:27], 0
	s_mov_b64 s[28:29], s[8:9]
	;; [unrolled: 1-line block ×3, first 2 shown]
	s_branch .LBB3_98
.LBB3_97:                               ;   in Loop: Header=BB3_98 Depth=1
	s_or_b64 exec, exec, s[34:35]
	s_add_u32 s0, s30, 0xfff80000
	s_addc_u32 s1, s31, -1
	s_add_u32 s22, s22, s30
	s_addc_u32 s23, s23, s31
	s_add_u32 s28, s28, 0xfffffc00
	s_addc_u32 s29, s29, -1
	s_add_u32 s26, s26, 0xfffffe00
	s_addc_u32 s27, s27, -1
	;; [unrolled: 2-line block ×3, first 2 shown]
	s_add_u32 s8, s8, s24
	s_addc_u32 s9, s9, s25
	s_add_u32 s18, s18, 0xfffff800
	s_addc_u32 s19, s19, -1
	s_add_u32 s20, s20, 0xfffff800
	v_add_u32_e32 v18, 0x200, v18
	s_addc_u32 s21, s21, -1
	s_and_b64 vcc, exec, s[4:5]
	s_mov_b64 s[24:25], s[30:31]
	s_mov_b64 s[30:31], s[0:1]
	;; [unrolled: 1-line block ×3, first 2 shown]
	s_waitcnt vmcnt(0)
	s_barrier
	s_cbranch_vccnz .LBB3_128
.LBB3_98:                               ; =>This Loop Header: Depth=1
                                        ;     Child Loop BB3_102 Depth 2
                                        ;     Child Loop BB3_111 Depth 2
                                        ;       Child Loop BB3_113 Depth 3
	v_add_u32_e32 v20, s34, v0
	v_cmp_le_i32_e32 vcc, s17, v20
	v_cmp_gt_i32_e64 s[0:1], s17, v20
	s_and_saveexec_b64 s[4:5], s[0:1]
	s_cbranch_execz .LBB3_100
; %bb.99:                               ;   in Loop: Header=BB3_98 Depth=1
	v_mad_u64_u32 v[4:5], s[2:3], s10, v20, 0
	v_mad_u64_u32 v[5:6], s[2:3], s11, v20, v[5:6]
	v_mov_b32_e32 v6, s56
	v_lshlrev_b64 v[4:5], 3, v[4:5]
	v_add_co_u32_e64 v4, s[2:3], s33, v4
	v_addc_co_u32_e64 v5, s[2:3], v6, v5, s[2:3]
	global_load_dwordx2 v[4:5], v[4:5], off
	s_waitcnt vmcnt(0)
	ds_write_b64 v16, v[4:5]
.LBB3_100:                              ;   in Loop: Header=BB3_98 Depth=1
	s_or_b64 exec, exec, s[4:5]
	v_or_b32_e32 v7, s34, v0
	v_sub_u32_e32 v6, s16, v7
	v_mad_u64_u32 v[4:5], s[2:3], v6, v7, 0
	v_ashrrev_i32_e32 v6, 31, v6
	s_mov_b32 s44, 0
	v_mad_u64_u32 v[5:6], s[2:3], v6, v7, v[5:6]
	v_cmp_le_i32_e64 s[2:3], s17, v7
	v_mov_b32_e32 v7, v3
	v_lshlrev_b64 v[4:5], 2, v[4:5]
	s_xor_b64 s[36:37], vcc, -1
	v_and_b32_e32 v4, -8, v4
	v_add_co_u32_e64 v4, s[4:5], s14, v4
	v_addc_co_u32_e64 v5, s[4:5], v19, v5, s[4:5]
	s_mov_b64 s[4:5], 0
	s_mov_b64 s[38:39], s[22:23]
	;; [unrolled: 1-line block ×3, first 2 shown]
	v_mov_b32_e32 v6, v2
	s_waitcnt lgkmcnt(0)
	s_barrier
	s_branch .LBB3_102
.LBB3_101:                              ;   in Loop: Header=BB3_102 Depth=2
	s_or_b64 exec, exec, s[42:43]
	s_add_u32 s4, s4, 1
	s_addc_u32 s5, s5, 0
	s_add_u32 s42, s40, -2
	s_addc_u32 s43, s41, -1
	s_add_u32 s38, s38, s40
	v_add_co_u32_e32 v6, vcc, -8, v6
	s_addc_u32 s39, s39, s41
	s_add_i32 s44, s44, 8
	v_addc_co_u32_e32 v7, vcc, -1, v7, vcc
	s_cmpk_eq_i32 s4, 0x200
	s_mov_b64 s[40:41], s[42:43]
	s_cbranch_scc1 .LBB3_107
.LBB3_102:                              ;   Parent Loop BB3_98 Depth=1
                                        ; =>  This Inner Loop Header: Depth=2
	v_cmp_ne_u32_e32 vcc, s4, v0
	s_or_b64 s[42:43], s[12:13], vcc
	s_nor_b64 s[46:47], s[42:43], s[2:3]
	s_and_saveexec_b64 s[42:43], s[46:47]
	s_cbranch_execz .LBB3_104
; %bb.103:                              ;   in Loop: Header=BB3_102 Depth=2
	global_load_dwordx2 v[8:9], v[4:5], off
	ds_read_b64 v[10:11], v16
	s_waitcnt vmcnt(0) lgkmcnt(0)
	v_div_scale_f64 v[12:13], s[46:47], v[8:9], v[8:9], v[10:11]
	v_div_scale_f64 v[23:24], vcc, v[10:11], v[8:9], v[10:11]
	v_rcp_f64_e32 v[14:15], v[12:13]
	v_fma_f64 v[21:22], -v[12:13], v[14:15], 1.0
	v_fma_f64 v[14:15], v[14:15], v[21:22], v[14:15]
	v_fma_f64 v[21:22], -v[12:13], v[14:15], 1.0
	v_fma_f64 v[14:15], v[14:15], v[21:22], v[14:15]
	v_mul_f64 v[21:22], v[23:24], v[14:15]
	v_fma_f64 v[12:13], -v[12:13], v[21:22], v[23:24]
	v_div_fmas_f64 v[12:13], v[12:13], v[14:15], v[21:22]
	v_div_fixup_f64 v[8:9], v[12:13], v[8:9], v[10:11]
	ds_write_b64 v16, v[8:9]
.LBB3_104:                              ;   in Loop: Header=BB3_102 Depth=2
	s_or_b64 exec, exec, s[42:43]
	v_cmp_lt_u32_e32 vcc, s4, v0
	s_waitcnt lgkmcnt(0)
	s_barrier
	s_and_saveexec_b64 s[42:43], vcc
	s_cbranch_execz .LBB3_101
; %bb.105:                              ;   in Loop: Header=BB3_102 Depth=2
	s_add_i32 s45, s34, s4
	s_cmp_lt_i32 s45, s17
	s_cselect_b64 s[46:47], -1, 0
	s_and_b64 s[46:47], s[36:37], s[46:47]
	s_and_b64 exec, exec, s[46:47]
	s_cbranch_execz .LBB3_101
; %bb.106:                              ;   in Loop: Header=BB3_102 Depth=2
	s_lshl_b64 s[46:47], s[38:39], 2
	s_and_b32 s45, s46, -8
	v_mov_b32_e32 v9, s47
	v_add_co_u32_e32 v8, vcc, s45, v6
	v_addc_co_u32_e32 v9, vcc, v7, v9, vcc
	global_load_dwordx2 v[8:9], v[8:9], off
	v_mov_b32_e32 v10, s44
	ds_read_b64 v[10:11], v10
	ds_read_b64 v[12:13], v16
	s_waitcnt vmcnt(0) lgkmcnt(0)
	v_fma_f64 v[8:9], -v[8:9], v[10:11], v[12:13]
	ds_write_b64 v16, v[8:9]
	s_branch .LBB3_101
.LBB3_107:                              ;   in Loop: Header=BB3_98 Depth=1
	s_add_u32 s2, s34, 0x200
	s_addc_u32 s3, s35, 0
	s_cmp_ge_i32 s2, s17
	s_cselect_b64 s[4:5], -1, 0
	s_and_b64 vcc, exec, s[4:5]
	s_waitcnt lgkmcnt(0)
	s_barrier
	s_cbranch_vccnz .LBB3_126
; %bb.108:                              ;   in Loop: Header=BB3_98 Depth=1
	v_ashrrev_i32_e32 v5, 31, v18
	v_mov_b32_e32 v6, s27
	v_add_co_u32_e32 v4, vcc, s26, v18
	v_addc_co_u32_e32 v5, vcc, v6, v5, vcc
	v_lshlrev_b64 v[6:7], 3, v[4:5]
	v_mov_b32_e32 v5, s59
	v_add_co_u32_e32 v4, vcc, s58, v6
	v_addc_co_u32_e32 v5, vcc, v5, v7, vcc
	v_add_co_u32_e32 v6, vcc, s57, v6
	v_mov_b32_e32 v9, v1
	s_mov_b32 s35, s2
	v_addc_co_u32_e32 v7, vcc, v17, v7, vcc
	s_mov_b64 s[36:37], 0
	v_mov_b32_e32 v8, v0
                                        ; implicit-def: $sgpr38_sgpr39
	s_branch .LBB3_111
.LBB3_109:                              ;   in Loop: Header=BB3_111 Depth=2
	v_mad_u64_u32 v[12:13], s[42:43], s10, v21, 0
	s_addk_i32 s35, 0x200
	s_cmp_ge_i32 s35, s17
	v_mad_u64_u32 v[13:14], s[42:43], s11, v21, v[13:14]
	v_mov_b32_e32 v14, s56
	s_cselect_b64 s[42:43], -1, 0
	v_lshlrev_b64 v[12:13], 3, v[12:13]
	s_andn2_b64 s[38:39], s[38:39], exec
	v_add_co_u32_e32 v12, vcc, s33, v12
	v_addc_co_u32_e32 v13, vcc, v14, v13, vcc
	global_load_dwordx2 v[14:15], v[12:13], off
	v_add_co_u32_e32 v4, vcc, 0x1000, v4
	v_addc_co_u32_e32 v5, vcc, 0, v5, vcc
	v_add_co_u32_e32 v6, vcc, 0x1000, v6
	s_and_b64 s[42:43], s[42:43], exec
	v_addc_co_u32_e32 v7, vcc, 0, v7, vcc
	s_or_b64 s[38:39], s[38:39], s[42:43]
	s_waitcnt vmcnt(0)
	v_add_f64 v[10:11], v[14:15], -v[10:11]
	global_store_dwordx2 v[12:13], v[10:11], off
.LBB3_110:                              ;   in Loop: Header=BB3_111 Depth=2
	s_or_b64 exec, exec, s[40:41]
	s_and_b64 s[40:41], exec, s[38:39]
	s_or_b64 s[36:37], s[40:41], s[36:37]
	s_andn2_b64 exec, exec, s[36:37]
	s_cbranch_execz .LBB3_125
.LBB3_111:                              ;   Parent Loop BB3_98 Depth=1
                                        ; =>  This Loop Header: Depth=2
                                        ;       Child Loop BB3_113 Depth 3
	v_add_u32_e32 v21, s35, v0
	v_cmp_gt_i32_e32 vcc, s17, v21
	s_or_b64 s[38:39], s[38:39], exec
	s_and_saveexec_b64 s[40:41], vcc
	s_cbranch_execz .LBB3_110
; %bb.112:                              ;   in Loop: Header=BB3_111 Depth=2
	v_add_co_u32_e32 v22, vcc, 0x1ff, v8
	v_add_co_u32_e32 v8, vcc, 0x200, v8
	v_mov_b32_e32 v10, 0
	v_mov_b32_e32 v13, v7
	;; [unrolled: 1-line block ×3, first 2 shown]
	v_addc_co_u32_e32 v9, vcc, 0, v9, vcc
	v_mov_b32_e32 v11, 0
	s_mov_b64 s[42:43], 0
	s_mov_b32 s60, 0
	s_mov_b64 s[44:45], s[22:23]
	s_mov_b64 s[48:49], s[20:21]
	v_mov_b32_e32 v12, v6
	s_mov_b64 s[46:47], s[8:9]
	s_mov_b64 s[50:51], s[18:19]
	v_mov_b32_e32 v14, v4
.LBB3_113:                              ;   Parent Loop BB3_98 Depth=1
                                        ;     Parent Loop BB3_111 Depth=2
                                        ; =>    This Inner Loop Header: Depth=3
	v_cmp_ne_u32_e32 vcc, s42, v8
	s_xor_b64 s[52:53], s[12:13], -1
	s_add_u32 s61, s34, s42
	s_or_b64 s[54:55], s[52:53], vcc
	s_and_saveexec_b64 s[62:63], s[54:55]
	s_xor_b64 s[54:55], exec, s[62:63]
	s_cbranch_execz .LBB3_116
; %bb.114:                              ;   in Loop: Header=BB3_113 Depth=3
	s_cmp_ge_i32 s61, s17
	s_cbranch_scc1 .LBB3_116
; %bb.115:                              ;   in Loop: Header=BB3_113 Depth=3
	s_lshl_b64 s[62:63], s[44:45], 2
	s_and_b32 s62, s62, -8
	v_mov_b32_e32 v24, s63
	v_add_co_u32_e32 v23, vcc, s62, v12
	v_addc_co_u32_e32 v24, vcc, v13, v24, vcc
	global_load_dwordx2 v[23:24], v[23:24], off
	v_mov_b32_e32 v25, s60
	ds_read_b64 v[25:26], v25
	s_waitcnt vmcnt(0) lgkmcnt(0)
	v_fma_f64 v[10:11], v[23:24], v[25:26], v[10:11]
.LBB3_116:                              ;   in Loop: Header=BB3_113 Depth=3
	s_andn2_saveexec_b64 s[54:55], s[54:55]
	s_cbranch_execz .LBB3_118
; %bb.117:                              ;   in Loop: Header=BB3_113 Depth=3
	v_mov_b32_e32 v23, s60
	ds_read_b64 v[23:24], v23
	s_waitcnt lgkmcnt(0)
	v_add_f64 v[10:11], v[10:11], v[23:24]
.LBB3_118:                              ;   in Loop: Header=BB3_113 Depth=3
	s_or_b64 exec, exec, s[54:55]
	v_cmp_ne_u32_e32 vcc, s42, v22
	s_or_b64 s[52:53], s[52:53], vcc
	s_and_saveexec_b64 s[54:55], s[52:53]
	s_xor_b64 s[52:53], exec, s[54:55]
	s_cbranch_execz .LBB3_121
; %bb.119:                              ;   in Loop: Header=BB3_113 Depth=3
	s_add_i32 s61, s61, 1
	s_cmp_ge_i32 s61, s17
	s_cbranch_scc1 .LBB3_121
; %bb.120:                              ;   in Loop: Header=BB3_113 Depth=3
	s_lshl_b64 s[54:55], s[46:47], 2
	s_and_b32 s54, s54, -8
	v_mov_b32_e32 v24, s55
	v_add_co_u32_e32 v23, vcc, s54, v14
	v_addc_co_u32_e32 v24, vcc, v15, v24, vcc
	global_load_dwordx2 v[23:24], v[23:24], off
	v_mov_b32_e32 v25, s60
	ds_read_b64 v[25:26], v25 offset:8
	s_waitcnt vmcnt(0) lgkmcnt(0)
	v_fma_f64 v[10:11], v[23:24], v[25:26], v[10:11]
.LBB3_121:                              ;   in Loop: Header=BB3_113 Depth=3
	s_andn2_saveexec_b64 s[52:53], s[52:53]
	s_cbranch_execz .LBB3_123
; %bb.122:                              ;   in Loop: Header=BB3_113 Depth=3
	v_mov_b32_e32 v23, s60
	ds_read_b64 v[23:24], v23 offset:8
	s_waitcnt lgkmcnt(0)
	v_add_f64 v[10:11], v[10:11], v[23:24]
.LBB3_123:                              ;   in Loop: Header=BB3_113 Depth=3
	s_or_b64 exec, exec, s[52:53]
	s_add_u32 s42, s42, 2
	s_addc_u32 s43, s43, 0
	s_add_i32 s60, s60, 16
	s_add_u32 s52, s50, -8
	s_addc_u32 s53, s51, -1
	s_add_u32 s46, s46, s50
	s_addc_u32 s47, s47, s51
	s_add_u32 s50, s48, -8
	v_add_co_u32_e32 v14, vcc, -16, v14
	s_addc_u32 s51, s49, -1
	v_addc_co_u32_e32 v15, vcc, -1, v15, vcc
	s_add_u32 s44, s44, s48
	s_addc_u32 s45, s45, s49
	v_add_co_u32_e32 v12, vcc, -16, v12
	s_cmpk_eq_i32 s42, 0x200
	v_addc_co_u32_e32 v13, vcc, -1, v13, vcc
	s_cbranch_scc1 .LBB3_109
; %bb.124:                              ;   in Loop: Header=BB3_113 Depth=3
	s_mov_b64 s[48:49], s[50:51]
	s_mov_b64 s[50:51], s[52:53]
	s_branch .LBB3_113
.LBB3_125:                              ;   in Loop: Header=BB3_98 Depth=1
	s_or_b64 exec, exec, s[36:37]
.LBB3_126:                              ;   in Loop: Header=BB3_98 Depth=1
	s_and_saveexec_b64 s[34:35], s[0:1]
	s_cbranch_execz .LBB3_97
; %bb.127:                              ;   in Loop: Header=BB3_98 Depth=1
	v_mad_u64_u32 v[4:5], s[0:1], s10, v20, 0
	v_mov_b32_e32 v8, s56
	v_mad_u64_u32 v[5:6], s[0:1], s11, v20, v[5:6]
	ds_read_b64 v[6:7], v16
	v_lshlrev_b64 v[4:5], 3, v[4:5]
	v_add_co_u32_e32 v4, vcc, s33, v4
	v_addc_co_u32_e32 v5, vcc, v8, v5, vcc
	s_waitcnt lgkmcnt(0)
	global_store_dwordx2 v[4:5], v[6:7], off
	s_branch .LBB3_97
.LBB3_128:
	s_mov_b64 s[0:1], 0
.LBB3_129:
	s_andn2_b64 vcc, exec, s[0:1]
	s_cbranch_vccnz .LBB3_159
; %bb.130:
	s_andn2_b64 vcc, exec, s[6:7]
	s_cbranch_vccnz .LBB3_159
; %bb.131:
	v_mov_b32_e32 v1, 0x1000
	v_mov_b32_e32 v3, 0
	s_add_i32 s28, s17, 0xfffffe00
	v_lshl_or_b32 v15, v0, 3, v1
	s_mov_b32 s26, 0
	s_mov_b32 s27, s17
	v_mov_b32_e32 v1, v3
	v_mov_b32_e32 v16, s15
	s_xor_b64 s[4:5], s[12:13], -1
	s_branch .LBB3_133
.LBB3_132:                              ;   in Loop: Header=BB3_133 Depth=1
	s_or_b64 exec, exec, s[6:7]
	s_add_u32 s27, s27, 0xfffffe00
	s_addc_u32 s26, s26, -1
	s_and_b64 vcc, exec, s[2:3]
	s_mov_b32 s28, s15
	s_waitcnt vmcnt(0)
	s_barrier
	s_cbranch_vccnz .LBB3_159
.LBB3_133:                              ; =>This Loop Header: Depth=1
                                        ;     Child Loop BB3_137 Depth 2
                                        ;     Child Loop BB3_145 Depth 2
                                        ;       Child Loop BB3_148 Depth 3
	v_add_u32_e32 v4, s28, v0
	v_cmp_gt_i32_e32 vcc, 0, v4
	v_cmp_lt_i32_e64 s[0:1], -1, v4
	v_mov_b32_e32 v5, v3
	s_and_saveexec_b64 s[6:7], s[0:1]
	s_cbranch_execz .LBB3_135
; %bb.134:                              ;   in Loop: Header=BB3_133 Depth=1
	v_mad_u64_u32 v[6:7], s[2:3], s10, v4, 0
	v_mov_b32_e32 v2, v7
	v_mad_u64_u32 v[7:8], s[2:3], s11, v4, v[2:3]
	v_mov_b32_e32 v2, s56
	v_lshlrev_b64 v[6:7], 3, v[6:7]
	v_add_co_u32_e64 v6, s[2:3], s33, v6
	v_addc_co_u32_e64 v7, s[2:3], v2, v7, s[2:3]
	global_load_dwordx2 v[6:7], v[6:7], off
	s_waitcnt vmcnt(0)
	ds_write_b64 v15, v[6:7]
.LBB3_135:                              ;   in Loop: Header=BB3_133 Depth=1
	s_or_b64 exec, exec, s[6:7]
	v_add_u32_e32 v2, 1, v4
	v_mad_u64_u32 v[8:9], s[2:3], v4, v2, 0
	v_lshlrev_b64 v[10:11], 3, v[4:5]
	v_ashrrev_i32_e32 v7, 31, v4
	v_mov_b32_e32 v6, v4
	v_add_co_u32_e64 v10, s[2:3], s14, v10
	v_lshlrev_b64 v[5:6], 3, v[6:7]
	v_addc_co_u32_e64 v11, s[2:3], v16, v11, s[2:3]
	v_lshlrev_b64 v[8:9], 2, v[8:9]
	v_add_co_u32_e64 v2, s[2:3], s14, v5
	v_addc_co_u32_e64 v7, s[2:3], v16, v6, s[2:3]
	v_and_b32_e32 v5, -8, v8
	v_add_co_u32_e64 v5, s[2:3], v10, v5
	v_addc_co_u32_e64 v6, s[2:3], v11, v9, s[2:3]
	s_or_b64 s[2:3], s[12:13], vcc
	s_movk_i32 s8, 0x1ff
	s_movk_i32 s9, 0x1ff8
	s_xor_b64 s[6:7], s[2:3], -1
	s_waitcnt lgkmcnt(0)
	s_barrier
	s_branch .LBB3_137
.LBB3_136:                              ;   in Loop: Header=BB3_137 Depth=2
	s_or_b64 exec, exec, s[2:3]
	s_add_i32 s8, s8, -1
	s_add_i32 s9, s9, -8
	s_cmp_eq_u32 s8, -1
	s_cbranch_scc1 .LBB3_141
.LBB3_137:                              ;   Parent Loop BB3_133 Depth=1
                                        ; =>  This Inner Loop Header: Depth=2
	v_cmp_eq_u32_e32 vcc, s8, v0
	s_and_b64 s[16:17], vcc, s[6:7]
	s_and_saveexec_b64 s[2:3], s[16:17]
	s_cbranch_execz .LBB3_139
; %bb.138:                              ;   in Loop: Header=BB3_137 Depth=2
	global_load_dwordx2 v[8:9], v[5:6], off
	ds_read_b64 v[10:11], v15
	s_waitcnt vmcnt(0) lgkmcnt(0)
	v_div_scale_f64 v[12:13], s[16:17], v[8:9], v[8:9], v[10:11]
	v_div_scale_f64 v[21:22], vcc, v[10:11], v[8:9], v[10:11]
	v_rcp_f64_e32 v[17:18], v[12:13]
	v_fma_f64 v[19:20], -v[12:13], v[17:18], 1.0
	v_fma_f64 v[17:18], v[17:18], v[19:20], v[17:18]
	v_fma_f64 v[19:20], -v[12:13], v[17:18], 1.0
	v_fma_f64 v[17:18], v[17:18], v[19:20], v[17:18]
	v_mul_f64 v[19:20], v[21:22], v[17:18]
	v_fma_f64 v[12:13], -v[12:13], v[19:20], v[21:22]
	v_div_fmas_f64 v[12:13], v[12:13], v[17:18], v[19:20]
	v_div_fixup_f64 v[8:9], v[12:13], v[8:9], v[10:11]
	ds_write_b64 v15, v[8:9]
.LBB3_139:                              ;   in Loop: Header=BB3_137 Depth=2
	s_or_b64 exec, exec, s[2:3]
	s_add_i32 s16, s27, s8
	s_add_i32 s15, s16, 0xfffffe00
	v_or_b32_e32 v8, s15, v4
	v_cmp_gt_u32_e32 vcc, s8, v0
	v_cmp_lt_i32_e64 s[2:3], -1, v8
	s_and_b64 s[18:19], vcc, s[2:3]
	s_waitcnt lgkmcnt(0)
	s_barrier
	s_and_saveexec_b64 s[2:3], s[18:19]
	s_cbranch_execz .LBB3_136
; %bb.140:                              ;   in Loop: Header=BB3_137 Depth=2
	s_addk_i32 s16, 0xfe01
	s_mul_hi_u32 s17, s16, s15
	s_mul_i32 s16, s16, s15
	s_lshl_b64 s[16:17], s[16:17], 2
	s_and_b32 s15, s16, -8
	v_mov_b32_e32 v9, s17
	v_add_co_u32_e32 v8, vcc, s15, v2
	v_addc_co_u32_e32 v9, vcc, v7, v9, vcc
	global_load_dwordx2 v[8:9], v[8:9], off
	v_mov_b32_e32 v10, s9
	ds_read_b64 v[10:11], v10
	ds_read_b64 v[12:13], v15
	s_waitcnt vmcnt(0) lgkmcnt(0)
	v_fma_f64 v[8:9], -v[8:9], v[10:11], v[12:13]
	ds_write_b64 v15, v[8:9]
	s_branch .LBB3_136
.LBB3_141:                              ;   in Loop: Header=BB3_133 Depth=1
	s_add_i32 s15, s28, 0xfffffe00
	s_cmp_lt_i32 s28, 1
	s_cselect_b64 s[2:3], -1, 0
	s_and_b64 vcc, exec, s[2:3]
	s_waitcnt lgkmcnt(0)
	s_barrier
	s_cbranch_vccnz .LBB3_157
; %bb.142:                              ;   in Loop: Header=BB3_133 Depth=1
	v_mov_b32_e32 v6, v1
	s_mov_b64 s[6:7], 0
	v_mov_b32_e32 v5, v0
	s_mov_b32 s29, s15
                                        ; implicit-def: $sgpr8_sgpr9
	s_branch .LBB3_145
.LBB3_143:                              ;   in Loop: Header=BB3_145 Depth=2
	v_mad_u64_u32 v[9:10], s[18:19], s10, v2, 0
	s_add_i32 s20, s29, 0xfffffe00
	s_cmp_lt_i32 s29, 1
	v_mad_u64_u32 v[10:11], s[18:19], s11, v2, v[10:11]
	v_mov_b32_e32 v2, s56
	s_cselect_b64 s[18:19], -1, 0
	v_lshlrev_b64 v[9:10], 3, v[9:10]
	s_andn2_b64 s[8:9], s[8:9], exec
	v_add_co_u32_e32 v9, vcc, s33, v9
	v_addc_co_u32_e32 v10, vcc, v2, v10, vcc
	global_load_dwordx2 v[11:12], v[9:10], off
	v_add_co_u32_e32 v5, vcc, 0xfffffe00, v5
	s_and_b64 s[18:19], s[18:19], exec
	v_addc_co_u32_e32 v6, vcc, -1, v6, vcc
	s_or_b64 s[8:9], s[8:9], s[18:19]
	s_mov_b32 s29, s20
	s_waitcnt vmcnt(0)
	v_add_f64 v[7:8], v[11:12], -v[7:8]
	global_store_dwordx2 v[9:10], v[7:8], off
.LBB3_144:                              ;   in Loop: Header=BB3_145 Depth=2
	s_or_b64 exec, exec, s[16:17]
	s_and_b64 s[16:17], exec, s[8:9]
	s_or_b64 s[6:7], s[16:17], s[6:7]
	s_andn2_b64 exec, exec, s[6:7]
	s_cbranch_execz .LBB3_156
.LBB3_145:                              ;   Parent Loop BB3_133 Depth=1
                                        ; =>  This Loop Header: Depth=2
                                        ;       Child Loop BB3_148 Depth 3
	v_add_u32_e32 v2, s29, v0
	v_cmp_lt_i32_e32 vcc, -1, v2
	s_or_b64 s[8:9], s[8:9], exec
	s_and_saveexec_b64 s[16:17], vcc
	s_cbranch_execz .LBB3_144
; %bb.146:                              ;   in Loop: Header=BB3_145 Depth=2
	v_lshlrev_b64 v[7:8], 3, v[2:3]
	s_movk_i32 s30, 0x1000
	v_add_co_u32_e32 v17, vcc, s14, v7
	v_addc_co_u32_e32 v18, vcc, v16, v8, vcc
	v_mov_b32_e32 v7, 0
	v_add_co_u32_e32 v19, vcc, 0xfffffdff, v5
	v_add_co_u32_e32 v20, vcc, 0xfffffe00, v5
	v_mov_b32_e32 v8, 0
	s_mov_b64 s[18:19], 0
	s_branch .LBB3_148
.LBB3_147:                              ;   in Loop: Header=BB3_148 Depth=3
	s_or_b64 exec, exec, s[20:21]
	s_waitcnt lgkmcnt(0)
	v_add_f64 v[7:8], v[7:8], v[9:10]
	s_add_i32 s30, s30, 16
	s_add_u32 s18, s18, 2
	s_addc_u32 s19, s19, 0
	s_cmpk_eq_i32 s18, 0x200
	v_add_f64 v[7:8], v[7:8], v[13:14]
	s_cbranch_scc1 .LBB3_143
.LBB3_148:                              ;   Parent Loop BB3_133 Depth=1
                                        ;     Parent Loop BB3_145 Depth=2
                                        ; =>    This Inner Loop Header: Depth=3
	v_cmp_ne_u32_e32 vcc, s18, v20
	s_or_b64 s[24:25], s[4:5], vcc
                                        ; implicit-def: $vgpr9_vgpr10
                                        ; implicit-def: $sgpr20_sgpr21
                                        ; implicit-def: $sgpr22_sgpr23
	s_and_saveexec_b64 s[34:35], s[24:25]
	s_xor_b64 s[24:25], exec, s[34:35]
	s_cbranch_execz .LBB3_150
; %bb.149:                              ;   in Loop: Header=BB3_148 Depth=3
	s_add_u32 s20, s27, s18
	s_addc_u32 s21, s26, s19
	s_add_u32 s22, s20, 0xfffffe01
	s_addc_u32 s23, s21, 0
	;; [unrolled: 2-line block ×3, first 2 shown]
	s_mul_i32 s34, s22, s34
	s_mul_hi_u32 s35, s22, s31
	s_add_i32 s35, s35, s34
	s_mul_i32 s34, s22, s31
	s_lshl_b64 s[34:35], s[34:35], 2
	s_and_b32 s31, s34, -8
	v_mov_b32_e32 v10, s35
	v_add_co_u32_e32 v9, vcc, s31, v17
	v_addc_co_u32_e32 v10, vcc, v18, v10, vcc
	global_load_dwordx2 v[9:10], v[9:10], off
	v_mov_b32_e32 v11, s30
	ds_read_b64 v[11:12], v11
	s_waitcnt vmcnt(0) lgkmcnt(0)
	v_mul_f64 v[9:10], v[9:10], v[11:12]
.LBB3_150:                              ;   in Loop: Header=BB3_148 Depth=3
	s_or_saveexec_b64 s[24:25], s[24:25]
	v_mov_b32_e32 v11, s22
	v_mov_b32_e32 v12, s23
	;; [unrolled: 1-line block ×4, first 2 shown]
	s_xor_b64 exec, exec, s[24:25]
	s_cbranch_execz .LBB3_152
; %bb.151:                              ;   in Loop: Header=BB3_148 Depth=3
	v_mov_b32_e32 v9, s30
	s_add_u32 s20, s27, s18
	ds_read_b64 v[9:10], v9
	s_addc_u32 s21, s26, s19
	s_add_u32 s22, s20, 0xfffffe01
	s_addc_u32 s23, s21, 0
	v_mov_b32_e32 v11, s22
	v_mov_b32_e32 v12, s23
	;; [unrolled: 1-line block ×4, first 2 shown]
.LBB3_152:                              ;   in Loop: Header=BB3_148 Depth=3
	s_or_b64 exec, exec, s[24:25]
	v_cmp_ne_u32_e32 vcc, s18, v19
	s_or_b64 s[20:21], s[4:5], vcc
                                        ; implicit-def: $vgpr13_vgpr14
	s_and_saveexec_b64 s[22:23], s[20:21]
	s_xor_b64 s[20:21], exec, s[22:23]
	s_cbranch_execz .LBB3_154
; %bb.153:                              ;   in Loop: Header=BB3_148 Depth=3
	v_add_u32_e32 v12, 0xfffffe02, v12
	v_mad_u64_u32 v[11:12], s[22:23], v12, v11, 0
	v_mov_b32_e32 v13, s30
	ds_read_b64 v[13:14], v13 offset:8
	v_lshlrev_b64 v[11:12], 2, v[11:12]
	v_and_b32_e32 v11, -8, v11
	v_add_co_u32_e32 v11, vcc, v17, v11
	v_addc_co_u32_e32 v12, vcc, v18, v12, vcc
	global_load_dwordx2 v[11:12], v[11:12], off
	s_waitcnt vmcnt(0) lgkmcnt(0)
	v_mul_f64 v[13:14], v[11:12], v[13:14]
.LBB3_154:                              ;   in Loop: Header=BB3_148 Depth=3
	s_andn2_saveexec_b64 s[20:21], s[20:21]
	s_cbranch_execz .LBB3_147
; %bb.155:                              ;   in Loop: Header=BB3_148 Depth=3
	v_mov_b32_e32 v11, s30
	ds_read_b64 v[13:14], v11 offset:8
	s_branch .LBB3_147
.LBB3_156:                              ;   in Loop: Header=BB3_133 Depth=1
	s_or_b64 exec, exec, s[6:7]
.LBB3_157:                              ;   in Loop: Header=BB3_133 Depth=1
	s_and_saveexec_b64 s[6:7], s[0:1]
	s_cbranch_execz .LBB3_132
; %bb.158:                              ;   in Loop: Header=BB3_133 Depth=1
	v_mad_u64_u32 v[5:6], s[0:1], s10, v4, 0
	v_mov_b32_e32 v2, v6
	v_mad_u64_u32 v[6:7], s[0:1], s11, v4, v[2:3]
	ds_read_b64 v[7:8], v15
	v_mov_b32_e32 v2, s56
	v_lshlrev_b64 v[4:5], 3, v[5:6]
	v_add_co_u32_e32 v4, vcc, s33, v4
	v_addc_co_u32_e32 v5, vcc, v2, v5, vcc
	s_waitcnt lgkmcnt(0)
	global_store_dwordx2 v[4:5], v[7:8], off
	s_branch .LBB3_132
.LBB3_159:
	s_endpgm
	.section	.rodata,"a",@progbits
	.p2align	6, 0x0
	.amdhsa_kernel _ZL19rocblas_tpsv_kernelILb0ELi512EPKdPdEv18rocblas_operation_bbiT1_llT2_lll
		.amdhsa_group_segment_fixed_size 8192
		.amdhsa_private_segment_fixed_size 0
		.amdhsa_kernarg_size 72
		.amdhsa_user_sgpr_count 6
		.amdhsa_user_sgpr_private_segment_buffer 1
		.amdhsa_user_sgpr_dispatch_ptr 0
		.amdhsa_user_sgpr_queue_ptr 0
		.amdhsa_user_sgpr_kernarg_segment_ptr 1
		.amdhsa_user_sgpr_dispatch_id 0
		.amdhsa_user_sgpr_flat_scratch_init 0
		.amdhsa_user_sgpr_private_segment_size 0
		.amdhsa_uses_dynamic_stack 0
		.amdhsa_system_sgpr_private_segment_wavefront_offset 0
		.amdhsa_system_sgpr_workgroup_id_x 1
		.amdhsa_system_sgpr_workgroup_id_y 0
		.amdhsa_system_sgpr_workgroup_id_z 0
		.amdhsa_system_sgpr_workgroup_info 0
		.amdhsa_system_vgpr_workitem_id 0
		.amdhsa_next_free_vgpr 30
		.amdhsa_next_free_sgpr 64
		.amdhsa_reserve_vcc 1
		.amdhsa_reserve_flat_scratch 0
		.amdhsa_float_round_mode_32 0
		.amdhsa_float_round_mode_16_64 0
		.amdhsa_float_denorm_mode_32 3
		.amdhsa_float_denorm_mode_16_64 3
		.amdhsa_dx10_clamp 1
		.amdhsa_ieee_mode 1
		.amdhsa_fp16_overflow 0
		.amdhsa_exception_fp_ieee_invalid_op 0
		.amdhsa_exception_fp_denorm_src 0
		.amdhsa_exception_fp_ieee_div_zero 0
		.amdhsa_exception_fp_ieee_overflow 0
		.amdhsa_exception_fp_ieee_underflow 0
		.amdhsa_exception_fp_ieee_inexact 0
		.amdhsa_exception_int_div_zero 0
	.end_amdhsa_kernel
	.section	.text._ZL19rocblas_tpsv_kernelILb0ELi512EPKdPdEv18rocblas_operation_bbiT1_llT2_lll,"axG",@progbits,_ZL19rocblas_tpsv_kernelILb0ELi512EPKdPdEv18rocblas_operation_bbiT1_llT2_lll,comdat
.Lfunc_end3:
	.size	_ZL19rocblas_tpsv_kernelILb0ELi512EPKdPdEv18rocblas_operation_bbiT1_llT2_lll, .Lfunc_end3-_ZL19rocblas_tpsv_kernelILb0ELi512EPKdPdEv18rocblas_operation_bbiT1_llT2_lll
                                        ; -- End function
	.set _ZL19rocblas_tpsv_kernelILb0ELi512EPKdPdEv18rocblas_operation_bbiT1_llT2_lll.num_vgpr, 30
	.set _ZL19rocblas_tpsv_kernelILb0ELi512EPKdPdEv18rocblas_operation_bbiT1_llT2_lll.num_agpr, 0
	.set _ZL19rocblas_tpsv_kernelILb0ELi512EPKdPdEv18rocblas_operation_bbiT1_llT2_lll.numbered_sgpr, 64
	.set _ZL19rocblas_tpsv_kernelILb0ELi512EPKdPdEv18rocblas_operation_bbiT1_llT2_lll.num_named_barrier, 0
	.set _ZL19rocblas_tpsv_kernelILb0ELi512EPKdPdEv18rocblas_operation_bbiT1_llT2_lll.private_seg_size, 0
	.set _ZL19rocblas_tpsv_kernelILb0ELi512EPKdPdEv18rocblas_operation_bbiT1_llT2_lll.uses_vcc, 1
	.set _ZL19rocblas_tpsv_kernelILb0ELi512EPKdPdEv18rocblas_operation_bbiT1_llT2_lll.uses_flat_scratch, 0
	.set _ZL19rocblas_tpsv_kernelILb0ELi512EPKdPdEv18rocblas_operation_bbiT1_llT2_lll.has_dyn_sized_stack, 0
	.set _ZL19rocblas_tpsv_kernelILb0ELi512EPKdPdEv18rocblas_operation_bbiT1_llT2_lll.has_recursion, 0
	.set _ZL19rocblas_tpsv_kernelILb0ELi512EPKdPdEv18rocblas_operation_bbiT1_llT2_lll.has_indirect_call, 0
	.section	.AMDGPU.csdata,"",@progbits
; Kernel info:
; codeLenInByte = 6344
; TotalNumSgprs: 68
; NumVgprs: 30
; ScratchSize: 0
; MemoryBound: 0
; FloatMode: 240
; IeeeMode: 1
; LDSByteSize: 8192 bytes/workgroup (compile time only)
; SGPRBlocks: 8
; VGPRBlocks: 7
; NumSGPRsForWavesPerEU: 68
; NumVGPRsForWavesPerEU: 30
; Occupancy: 8
; WaveLimiterHint : 0
; COMPUTE_PGM_RSRC2:SCRATCH_EN: 0
; COMPUTE_PGM_RSRC2:USER_SGPR: 6
; COMPUTE_PGM_RSRC2:TRAP_HANDLER: 0
; COMPUTE_PGM_RSRC2:TGID_X_EN: 1
; COMPUTE_PGM_RSRC2:TGID_Y_EN: 0
; COMPUTE_PGM_RSRC2:TGID_Z_EN: 0
; COMPUTE_PGM_RSRC2:TIDIG_COMP_CNT: 0
	.section	.text._ZL19rocblas_tpsv_kernelILb1ELi512EPK19rocblas_complex_numIfEPS1_Ev18rocblas_operation_bbiT1_llT2_lll,"axG",@progbits,_ZL19rocblas_tpsv_kernelILb1ELi512EPK19rocblas_complex_numIfEPS1_Ev18rocblas_operation_bbiT1_llT2_lll,comdat
	.globl	_ZL19rocblas_tpsv_kernelILb1ELi512EPK19rocblas_complex_numIfEPS1_Ev18rocblas_operation_bbiT1_llT2_lll ; -- Begin function _ZL19rocblas_tpsv_kernelILb1ELi512EPK19rocblas_complex_numIfEPS1_Ev18rocblas_operation_bbiT1_llT2_lll
	.p2align	8
	.type	_ZL19rocblas_tpsv_kernelILb1ELi512EPK19rocblas_complex_numIfEPS1_Ev18rocblas_operation_bbiT1_llT2_lll,@function
_ZL19rocblas_tpsv_kernelILb1ELi512EPK19rocblas_complex_numIfEPS1_Ev18rocblas_operation_bbiT1_llT2_lll: ; @_ZL19rocblas_tpsv_kernelILb1ELi512EPK19rocblas_complex_numIfEPS1_Ev18rocblas_operation_bbiT1_llT2_lll
; %bb.0:
	s_load_dwordx2 s[24:25], s[4:5], 0x0
	s_load_dwordx2 s[14:15], s[4:5], 0x4
	;; [unrolled: 1-line block ×3, first 2 shown]
	s_load_dwordx4 s[0:3], s[4:5], 0x18
	s_load_dwordx2 s[26:27], s[4:5], 0x28
	s_waitcnt lgkmcnt(0)
	s_bitcmp1_b32 s25, 0
	s_cselect_b64 s[8:9], -1, 0
	s_xor_b64 s[20:21], s[8:9], -1
	s_bitcmp1_b32 s14, 8
	s_load_dwordx4 s[8:11], s[4:5], 0x30
	s_load_dwordx2 s[28:29], s[4:5], 0x40
	s_mul_i32 s3, s3, s6
	s_mul_hi_u32 s4, s2, s6
	s_cselect_b64 s[12:13], -1, 0
	s_add_i32 s3, s4, s3
	s_mul_i32 s2, s2, s6
	s_lshl_b64 s[18:19], s[2:3], 3
	s_add_u32 s2, s16, s18
	s_addc_u32 s3, s17, s19
	s_lshl_b64 s[22:23], s[0:1], 3
	s_add_u32 s33, s2, s22
	s_waitcnt lgkmcnt(0)
	s_mul_i32 s0, s29, s6
	s_mul_hi_u32 s1, s28, s6
	s_addc_u32 s14, s3, s23
	s_add_i32 s1, s1, s0
	s_mul_i32 s0, s28, s6
	s_lshl_b64 s[0:1], s[0:1], 3
	s_add_u32 s2, s26, s0
	s_addc_u32 s3, s27, s1
	s_lshl_b64 s[0:1], s[8:9], 3
	s_add_u32 s54, s2, s0
	s_addc_u32 s55, s3, s1
	s_cmp_gt_i32 s15, 0
	s_cselect_b64 s[6:7], -1, 0
	s_cmpk_lg_i32 s24, 0x6f
	s_mov_b64 s[0:1], -1
	s_cbranch_scc0 .LBB4_92
; %bb.1:
	s_and_b64 vcc, exec, s[20:21]
	s_cbranch_vccz .LBB4_44
; %bb.2:
	s_andn2_b64 vcc, exec, s[6:7]
	s_cbranch_vccnz .LBB4_43
; %bb.3:
	s_lshl_b32 s2, s15, 1
	s_add_i32 s28, s15, 0xfffffe00
	s_or_b32 s34, s2, 1
	s_add_u32 s3, s18, s22
	v_lshlrev_b32_e32 v1, 3, v0
	s_addc_u32 s4, s19, s23
	v_or_b32_e32 v13, 0x3000, v1
	v_mov_b32_e32 v2, s4
	v_sub_co_u32_e32 v1, vcc, s3, v1
	v_subbrev_co_u32_e32 v2, vcc, 0, v2, vcc
	v_mov_b32_e32 v3, s17
	v_add_co_u32_e32 v1, vcc, s16, v1
	v_addc_co_u32_e32 v2, vcc, v3, v2, vcc
	s_movk_i32 s0, 0xff8
	v_add_co_u32_e32 v14, vcc, s0, v1
	s_ashr_i32 s1, s15, 31
	s_mov_b32 s0, s15
	s_lshl_b64 s[0:1], s[0:1], 3
	s_add_u32 s0, s3, s0
	s_addc_u32 s1, s4, s1
	s_add_u32 s0, s16, s0
	v_sub_u32_e32 v1, s15, v0
	s_addc_u32 s1, s17, s1
	v_add_u32_e32 v16, 0x201, v1
	v_add_u32_e32 v1, s15, v0
	s_add_u32 s4, s0, 0xfffff000
	v_addc_co_u32_e32 v15, vcc, 0, v2, vcc
	v_add_u32_e32 v17, 0xfffffe00, v1
	s_addc_u32 s5, s1, -1
	v_add_u32_e32 v18, 0xfffffc00, v1
	s_ashr_i32 s35, s2, 31
	v_mov_b32_e32 v19, s14
	s_movk_i32 s36, 0x400
	s_movk_i32 s37, 0x401
	;; [unrolled: 1-line block ×5, first 2 shown]
	s_branch .LBB4_5
.LBB4_4:                                ;   in Loop: Header=BB4_5 Depth=1
	s_or_b64 exec, exec, s[8:9]
	s_add_u32 s4, s4, 0xfffff000
	v_add_u32_e32 v16, 0x200, v16
	v_add_u32_e32 v17, 0xfffffe00, v17
	s_addc_u32 s5, s5, -1
	v_add_u32_e32 v18, 0xfffffe00, v18
	s_andn2_b64 vcc, exec, s[2:3]
	s_mov_b32 s28, s41
	s_waitcnt vmcnt(0)
	s_barrier
	s_cbranch_vccz .LBB4_43
.LBB4_5:                                ; =>This Loop Header: Depth=1
                                        ;     Child Loop BB4_9 Depth 2
                                        ;     Child Loop BB4_21 Depth 2
                                        ;       Child Loop BB4_24 Depth 3
	v_add_u32_e32 v20, s28, v0
	v_cmp_gt_i32_e32 vcc, 0, v20
	v_cmp_lt_i32_e64 s[0:1], -1, v20
	s_and_saveexec_b64 s[8:9], s[0:1]
	s_cbranch_execz .LBB4_7
; %bb.6:                                ;   in Loop: Header=BB4_5 Depth=1
	v_mad_u64_u32 v[1:2], s[2:3], s10, v20, 0
	v_mad_u64_u32 v[2:3], s[2:3], s11, v20, v[2:3]
	v_mov_b32_e32 v3, s55
	v_lshlrev_b64 v[1:2], 3, v[1:2]
	v_add_co_u32_e64 v1, s[2:3], s54, v1
	v_addc_co_u32_e64 v2, s[2:3], v3, v2, s[2:3]
	global_load_dwordx2 v[1:2], v[1:2], off
	s_waitcnt vmcnt(0)
	ds_write_b64 v13, v[1:2]
.LBB4_7:                                ;   in Loop: Header=BB4_5 Depth=1
	s_or_b64 exec, exec, s[8:9]
	v_mad_u64_u32 v[1:2], s[2:3], v16, v17, 0
	v_ashrrev_i32_e32 v3, 31, v16
	v_sub_u32_e32 v5, s34, v20
	v_mad_u64_u32 v[2:3], s[2:3], v3, v17, v[2:3]
	v_mad_u64_u32 v[3:4], s[2:3], v5, v20, 0
	v_lshlrev_b64 v[1:2], 2, v[1:2]
	v_ashrrev_i32_e32 v5, 31, v5
	v_and_b32_e32 v1, -8, v1
	v_add_co_u32_e64 v1, s[2:3], v14, v1
	v_addc_co_u32_e64 v2, s[2:3], v15, v2, s[2:3]
	v_mad_u64_u32 v[4:5], s[2:3], v5, v20, v[4:5]
	s_not_b32 s2, s28
	v_max_i32_e32 v11, s2, v0
	v_lshlrev_b64 v[3:4], 2, v[3:4]
	s_movk_i32 s29, 0x1ff
	v_and_b32_e32 v3, -8, v3
	v_add_co_u32_e64 v3, s[2:3], s33, v3
	v_addc_co_u32_e64 v4, s[2:3], v19, v4, s[2:3]
	s_or_b64 s[2:3], vcc, s[12:13]
	s_movk_i32 s30, 0x3ff8
	s_xor_b64 s[2:3], s[2:3], -1
	s_xor_b64 s[8:9], vcc, -1
	s_waitcnt lgkmcnt(0)
	s_barrier
	s_branch .LBB4_9
.LBB4_8:                                ;   in Loop: Header=BB4_9 Depth=2
	s_or_b64 exec, exec, s[24:25]
	s_add_i32 s29, s29, -1
	s_add_i32 s30, s30, -8
	v_add_co_u32_e32 v1, vcc, -8, v1
	s_cmp_eq_u32 s29, -1
	v_addc_co_u32_e32 v2, vcc, -1, v2, vcc
	s_cbranch_scc1 .LBB4_17
.LBB4_9:                                ;   Parent Loop BB4_5 Depth=1
                                        ; =>  This Inner Loop Header: Depth=2
	v_cmp_eq_u32_e32 vcc, s29, v0
	s_and_b64 s[26:27], vcc, s[2:3]
	s_and_saveexec_b64 s[24:25], s[26:27]
	s_cbranch_execz .LBB4_15
; %bb.10:                               ;   in Loop: Header=BB4_9 Depth=2
	global_load_dwordx2 v[7:8], v[3:4], off
	ds_read_b64 v[5:6], v13
                                        ; implicit-def: $vgpr9
	s_waitcnt vmcnt(0)
	v_cmp_ngt_f32_e64 s[26:27], |v7|, |v8|
	s_and_saveexec_b64 s[42:43], s[26:27]
	s_xor_b64 s[26:27], exec, s[42:43]
	s_cbranch_execz .LBB4_12
; %bb.11:                               ;   in Loop: Header=BB4_9 Depth=2
	v_div_scale_f32 v9, s[42:43], -v8, -v8, v7
	v_div_scale_f32 v10, vcc, v7, -v8, v7
	v_rcp_f32_e32 v12, v9
	v_fma_f32 v21, -v9, v12, 1.0
	v_fmac_f32_e32 v12, v21, v12
	v_mul_f32_e32 v21, v10, v12
	v_fma_f32 v22, -v9, v21, v10
	v_fmac_f32_e32 v21, v22, v12
	v_fma_f32 v9, -v9, v21, v10
	v_div_fmas_f32 v9, v9, v12, v21
	v_div_fixup_f32 v9, v9, -v8, v7
	v_fma_f32 v7, v7, v9, -v8
	v_div_scale_f32 v8, s[42:43], v7, v7, 1.0
	v_div_scale_f32 v10, vcc, 1.0, v7, 1.0
	v_rcp_f32_e32 v12, v8
	v_fma_f32 v21, -v8, v12, 1.0
	v_fmac_f32_e32 v12, v21, v12
	v_mul_f32_e32 v21, v10, v12
	v_fma_f32 v22, -v8, v21, v10
	v_fmac_f32_e32 v21, v22, v12
	v_fma_f32 v8, -v8, v21, v10
	v_div_fmas_f32 v8, v8, v12, v21
	s_waitcnt lgkmcnt(0)
	v_fma_f32 v10, v9, v5, v6
	v_fma_f32 v5, v9, v6, -v5
	v_div_fixup_f32 v6, v8, v7, 1.0
	v_mul_f32_e32 v9, v6, v10
	v_mul_f32_e32 v10, v6, v5
                                        ; implicit-def: $vgpr7_vgpr8
                                        ; implicit-def: $vgpr5_vgpr6
.LBB4_12:                               ;   in Loop: Header=BB4_9 Depth=2
	s_andn2_saveexec_b64 s[26:27], s[26:27]
	s_cbranch_execz .LBB4_14
; %bb.13:                               ;   in Loop: Header=BB4_9 Depth=2
	v_div_scale_f32 v9, s[42:43], v7, v7, -v8
	v_div_scale_f32 v10, vcc, -v8, v7, -v8
	v_rcp_f32_e32 v12, v9
	v_fma_f32 v21, -v9, v12, 1.0
	v_fmac_f32_e32 v12, v21, v12
	v_mul_f32_e32 v21, v10, v12
	v_fma_f32 v22, -v9, v21, v10
	v_fmac_f32_e32 v21, v22, v12
	v_fma_f32 v9, -v9, v21, v10
	v_div_fmas_f32 v9, v9, v12, v21
	v_div_fixup_f32 v9, v9, v7, -v8
	v_fma_f32 v7, -v8, v9, v7
	v_div_scale_f32 v8, s[42:43], v7, v7, 1.0
	v_div_scale_f32 v10, vcc, 1.0, v7, 1.0
	v_rcp_f32_e32 v12, v8
	v_fma_f32 v21, -v8, v12, 1.0
	v_fmac_f32_e32 v12, v21, v12
	v_mul_f32_e32 v21, v10, v12
	v_fma_f32 v22, -v8, v21, v10
	v_fmac_f32_e32 v21, v22, v12
	v_fma_f32 v8, -v8, v21, v10
	v_div_fmas_f32 v8, v8, v12, v21
	s_waitcnt lgkmcnt(0)
	v_fma_f32 v10, v9, v6, v5
	v_fma_f32 v5, -v9, v5, v6
	v_div_fixup_f32 v6, v8, v7, 1.0
	v_mul_f32_e32 v9, v6, v10
	v_mul_f32_e32 v10, v6, v5
.LBB4_14:                               ;   in Loop: Header=BB4_9 Depth=2
	s_or_b64 exec, exec, s[26:27]
	ds_write_b64 v13, v[9:10]
.LBB4_15:                               ;   in Loop: Header=BB4_9 Depth=2
	s_or_b64 exec, exec, s[24:25]
	v_cmp_gt_u32_e32 vcc, s29, v11
	s_and_b64 s[26:27], s[8:9], vcc
	s_waitcnt lgkmcnt(0)
	s_barrier
	s_and_saveexec_b64 s[24:25], s[26:27]
	s_cbranch_execz .LBB4_8
; %bb.16:                               ;   in Loop: Header=BB4_9 Depth=2
	global_load_dwordx2 v[5:6], v[1:2], off
	v_mov_b32_e32 v7, s30
	ds_read_b64 v[7:8], v7
	ds_read_b64 v[9:10], v13
	s_waitcnt vmcnt(0) lgkmcnt(1)
	v_mul_f32_e32 v12, v6, v8
	v_mul_f32_e32 v6, v6, v7
	v_fmac_f32_e32 v12, v5, v7
	v_fma_f32 v6, v5, v8, -v6
	s_waitcnt lgkmcnt(0)
	v_sub_f32_e32 v5, v9, v12
	v_sub_f32_e32 v6, v10, v6
	ds_write_b64 v13, v[5:6]
	s_branch .LBB4_8
.LBB4_17:                               ;   in Loop: Header=BB4_5 Depth=1
	s_add_i32 s41, s28, 0xfffffe00
	s_cmp_lt_i32 s28, 1
	s_cselect_b64 s[2:3], -1, 0
	s_and_b64 vcc, exec, s[2:3]
	s_waitcnt lgkmcnt(0)
	s_barrier
	s_cbranch_vccnz .LBB4_41
; %bb.18:                               ;   in Loop: Header=BB4_5 Depth=1
	v_mad_i64_i32 v[1:2], s[8:9], v18, -8, s[4:5]
	v_ashrrev_i32_e32 v3, 31, v18
	v_mov_b32_e32 v4, s35
	v_sub_co_u32_e32 v21, vcc, s34, v18
	v_subb_co_u32_e32 v22, vcc, v4, v3, vcc
	s_mov_b64 s[8:9], 0
	v_mov_b32_e32 v23, v18
	v_mov_b32_e32 v24, v0
	s_mov_b32 s42, s41
                                        ; implicit-def: $sgpr24_sgpr25
	s_branch .LBB4_21
.LBB4_19:                               ;   in Loop: Header=BB4_21 Depth=2
	v_mad_u64_u32 v[3:4], s[28:29], s10, v26, 0
	s_add_i32 s30, s42, 0xfffffe00
	s_cmp_lt_i32 s42, 1
	v_mad_u64_u32 v[4:5], s[28:29], s11, v26, v[4:5]
	v_mov_b32_e32 v5, s55
	s_cselect_b64 s[28:29], -1, 0
	v_lshlrev_b64 v[3:4], 3, v[3:4]
	s_andn2_b64 s[24:25], s[24:25], exec
	v_add_co_u32_e32 v3, vcc, s54, v3
	v_addc_co_u32_e32 v4, vcc, v5, v4, vcc
	global_load_dwordx2 v[5:6], v[3:4], off
	v_add_co_u32_e32 v1, vcc, s40, v1
	v_addc_co_u32_e32 v2, vcc, 0, v2, vcc
	v_add_co_u32_e32 v21, vcc, 0x200, v21
	s_and_b64 s[28:29], s[28:29], exec
	v_add_u32_e32 v24, 0xfffffe00, v24
	v_add_u32_e32 v23, 0xfffffe00, v23
	v_addc_co_u32_e32 v22, vcc, 0, v22, vcc
	s_or_b64 s[24:25], s[24:25], s[28:29]
	s_mov_b32 s42, s30
	s_waitcnt vmcnt(0)
	v_sub_f32_e32 v5, v5, v27
	v_sub_f32_e32 v6, v6, v25
	global_store_dwordx2 v[3:4], v[5:6], off
.LBB4_20:                               ;   in Loop: Header=BB4_21 Depth=2
	s_or_b64 exec, exec, s[26:27]
	s_and_b64 s[26:27], exec, s[24:25]
	s_or_b64 s[8:9], s[26:27], s[8:9]
	s_andn2_b64 exec, exec, s[8:9]
	s_cbranch_execz .LBB4_40
.LBB4_21:                               ;   Parent Loop BB4_5 Depth=1
                                        ; =>  This Loop Header: Depth=2
                                        ;       Child Loop BB4_24 Depth 3
	v_add_u32_e32 v26, s42, v0
	v_cmp_lt_i32_e32 vcc, -1, v26
	s_or_b64 s[24:25], s[24:25], exec
	s_and_saveexec_b64 s[26:27], vcc
	s_cbranch_execz .LBB4_20
; %bb.22:                               ;   in Loop: Header=BB4_21 Depth=2
	v_mad_u64_u32 v[3:4], s[28:29], v21, v23, 0
	v_mov_b32_e32 v25, 0
	s_movk_i32 s43, 0x3000
	v_mad_u64_u32 v[4:5], s[28:29], v22, v23, v[4:5]
	s_movk_i32 s44, 0x200
	v_mov_b32_e32 v27, 0
	v_lshlrev_b64 v[3:4], 2, v[3:4]
	v_and_b32_e32 v3, -8, v3
	v_add_co_u32_e32 v3, vcc, v1, v3
	v_addc_co_u32_e32 v4, vcc, v2, v4, vcc
	s_branch .LBB4_24
.LBB4_23:                               ;   in Loop: Header=BB4_24 Depth=3
	s_or_b64 exec, exec, s[28:29]
	s_waitcnt lgkmcnt(0)
	v_add_f32_e32 v6, v25, v6
	v_add_f32_e32 v5, v27, v5
	;; [unrolled: 1-line block ×6, first 2 shown]
	s_add_i32 s43, s43, 32
	s_add_i32 s44, s44, -4
	v_add_co_u32_e32 v3, vcc, 32, v3
	v_add_f32_e32 v25, v6, v12
	v_add_f32_e32 v27, v5, v11
	s_cmp_eq_u32 s44, 0
	v_addc_co_u32_e32 v4, vcc, 0, v4, vcc
	s_cbranch_scc1 .LBB4_19
.LBB4_24:                               ;   Parent Loop BB4_5 Depth=1
                                        ;     Parent Loop BB4_21 Depth=2
                                        ; =>    This Inner Loop Header: Depth=3
	v_add_u32_e32 v11, s44, v24
	v_cmp_ne_u32_e32 vcc, s36, v11
	s_xor_b64 s[28:29], s[12:13], -1
	s_or_b64 s[30:31], s[28:29], vcc
                                        ; implicit-def: $vgpr6
	s_and_saveexec_b64 s[46:47], s[30:31]
	s_xor_b64 s[30:31], exec, s[46:47]
	s_cbranch_execz .LBB4_26
; %bb.25:                               ;   in Loop: Header=BB4_24 Depth=3
	global_load_dwordx2 v[6:7], v[3:4], off
	v_mov_b32_e32 v5, s43
	ds_read_b64 v[8:9], v5
	s_waitcnt vmcnt(0) lgkmcnt(0)
	v_mul_f32_e32 v5, v7, v9
	v_mul_f32_e32 v7, v7, v8
	v_fmac_f32_e32 v5, v6, v8
	v_fma_f32 v6, v6, v9, -v7
.LBB4_26:                               ;   in Loop: Header=BB4_24 Depth=3
	s_andn2_saveexec_b64 s[30:31], s[30:31]
; %bb.27:                               ;   in Loop: Header=BB4_24 Depth=3
	v_mov_b32_e32 v5, s43
	ds_read_b64 v[5:6], v5
; %bb.28:                               ;   in Loop: Header=BB4_24 Depth=3
	s_or_b64 exec, exec, s[30:31]
	v_cmp_ne_u32_e32 vcc, s37, v11
	s_or_b64 s[30:31], s[28:29], vcc
                                        ; implicit-def: $vgpr8
	s_and_saveexec_b64 s[46:47], s[30:31]
	s_xor_b64 s[30:31], exec, s[46:47]
	s_cbranch_execz .LBB4_30
; %bb.29:                               ;   in Loop: Header=BB4_24 Depth=3
	global_load_dwordx2 v[8:9], v[3:4], off offset:8
	v_mov_b32_e32 v7, s43
	ds_read_b64 v[28:29], v7 offset:8
	s_waitcnt vmcnt(0) lgkmcnt(0)
	v_mul_f32_e32 v7, v9, v29
	v_mul_f32_e32 v9, v9, v28
	v_fmac_f32_e32 v7, v8, v28
	v_fma_f32 v8, v8, v29, -v9
.LBB4_30:                               ;   in Loop: Header=BB4_24 Depth=3
	s_andn2_saveexec_b64 s[30:31], s[30:31]
; %bb.31:                               ;   in Loop: Header=BB4_24 Depth=3
	v_mov_b32_e32 v7, s43
	ds_read_b64 v[7:8], v7 offset:8
; %bb.32:                               ;   in Loop: Header=BB4_24 Depth=3
	s_or_b64 exec, exec, s[30:31]
	v_cmp_ne_u32_e32 vcc, s38, v11
	s_or_b64 s[30:31], s[28:29], vcc
                                        ; implicit-def: $vgpr10
	s_and_saveexec_b64 s[46:47], s[30:31]
	s_xor_b64 s[30:31], exec, s[46:47]
	s_cbranch_execz .LBB4_34
; %bb.33:                               ;   in Loop: Header=BB4_24 Depth=3
	global_load_dwordx2 v[28:29], v[3:4], off offset:16
	v_mov_b32_e32 v9, s43
	ds_read_b64 v[30:31], v9 offset:16
	s_waitcnt vmcnt(0) lgkmcnt(0)
	v_mul_f32_e32 v9, v29, v31
	v_mul_f32_e32 v10, v29, v30
	v_fmac_f32_e32 v9, v28, v30
	v_fma_f32 v10, v28, v31, -v10
.LBB4_34:                               ;   in Loop: Header=BB4_24 Depth=3
	s_andn2_saveexec_b64 s[30:31], s[30:31]
; %bb.35:                               ;   in Loop: Header=BB4_24 Depth=3
	v_mov_b32_e32 v9, s43
	ds_read_b64 v[9:10], v9 offset:16
; %bb.36:                               ;   in Loop: Header=BB4_24 Depth=3
	s_or_b64 exec, exec, s[30:31]
	v_cmp_ne_u32_e32 vcc, s39, v11
	s_or_b64 s[28:29], s[28:29], vcc
                                        ; implicit-def: $vgpr12
	s_and_saveexec_b64 s[30:31], s[28:29]
	s_xor_b64 s[28:29], exec, s[30:31]
	s_cbranch_execz .LBB4_38
; %bb.37:                               ;   in Loop: Header=BB4_24 Depth=3
	global_load_dwordx2 v[28:29], v[3:4], off offset:24
	v_mov_b32_e32 v11, s43
	ds_read_b64 v[30:31], v11 offset:24
	s_waitcnt vmcnt(0) lgkmcnt(0)
	v_mul_f32_e32 v11, v29, v31
	v_mul_f32_e32 v12, v29, v30
	v_fmac_f32_e32 v11, v28, v30
	v_fma_f32 v12, v28, v31, -v12
.LBB4_38:                               ;   in Loop: Header=BB4_24 Depth=3
	s_andn2_saveexec_b64 s[28:29], s[28:29]
	s_cbranch_execz .LBB4_23
; %bb.39:                               ;   in Loop: Header=BB4_24 Depth=3
	v_mov_b32_e32 v11, s43
	ds_read_b64 v[11:12], v11 offset:24
	s_branch .LBB4_23
.LBB4_40:                               ;   in Loop: Header=BB4_5 Depth=1
	s_or_b64 exec, exec, s[8:9]
.LBB4_41:                               ;   in Loop: Header=BB4_5 Depth=1
	s_and_saveexec_b64 s[8:9], s[0:1]
	s_cbranch_execz .LBB4_4
; %bb.42:                               ;   in Loop: Header=BB4_5 Depth=1
	v_mad_u64_u32 v[1:2], s[0:1], s10, v20, 0
	v_mov_b32_e32 v5, s55
	v_mad_u64_u32 v[2:3], s[0:1], s11, v20, v[2:3]
	ds_read_b64 v[3:4], v13
	v_lshlrev_b64 v[1:2], 3, v[1:2]
	v_add_co_u32_e32 v1, vcc, s54, v1
	v_addc_co_u32_e32 v2, vcc, v5, v2, vcc
	s_waitcnt lgkmcnt(0)
	global_store_dwordx2 v[1:2], v[3:4], off
	s_branch .LBB4_4
.LBB4_43:
	s_mov_b64 s[0:1], 0
.LBB4_44:
	s_andn2_b64 vcc, exec, s[0:1]
	s_cbranch_vccnz .LBB4_91
; %bb.45:
	s_andn2_b64 vcc, exec, s[6:7]
	s_cbranch_vccnz .LBB4_91
; %bb.46:
	s_add_u32 s0, s18, s22
	s_addc_u32 s1, s19, s23
	v_mov_b32_e32 v1, 0x1000
	s_add_u32 s2, s16, s0
	v_mov_b32_e32 v2, 0
	v_lshl_or_b32 v19, v0, 3, v1
	s_addc_u32 s3, s17, s1
	v_mov_b32_e32 v1, v2
	s_add_u32 s36, s2, 4
	v_mad_u64_u32 v[3:4], s[0:1], v0, v0, v[0:1]
	s_addc_u32 s37, s3, 0
	v_lshlrev_b32_e32 v1, 10, v0
	s_mov_b32 s0, 0x40200
	v_add_co_u32_e32 v7, vcc, s0, v1
	v_or_b32_e32 v1, 0x200, v0
	s_add_u32 s8, s2, 28
	v_mov_b32_e32 v6, v2
	v_addc_co_u32_e64 v8, s[0:1], 0, 0, vcc
	s_mov_b32 s38, 0
	v_add_u32_e32 v20, 0x201, v0
	s_addc_u32 s9, s3, 0
	v_mov_b32_e32 v21, s14
	s_xor_b64 s[24:25], s[12:13], -1
	v_mov_b32_e32 v5, v1
	s_branch .LBB4_48
.LBB4_47:                               ;   in Loop: Header=BB4_48 Depth=1
	s_or_b64 exec, exec, s[4:5]
	v_add_co_u32_e32 v9, vcc, 0x80000, v7
	v_addc_co_u32_e32 v10, vcc, 0, v8, vcc
	v_add_co_u32_e32 v3, vcc, v3, v7
	s_add_u32 s36, s36, 0x1000
	v_addc_co_u32_e32 v4, vcc, v4, v8, vcc
	s_addc_u32 s37, s37, 0
	v_add_co_u32_e32 v5, vcc, 0x200, v5
	v_addc_co_u32_e32 v6, vcc, 0, v6, vcc
	s_add_u32 s8, s8, 0x1000
	v_mov_b32_e32 v7, v9
	v_add_u32_e32 v20, 0x200, v20
	s_addc_u32 s9, s9, 0
	s_and_b64 vcc, exec, s[2:3]
	v_mov_b32_e32 v8, v10
	s_mov_b32 s38, s39
	s_waitcnt vmcnt(0)
	s_barrier
	s_cbranch_vccnz .LBB4_91
.LBB4_48:                               ; =>This Loop Header: Depth=1
                                        ;     Child Loop BB4_52 Depth 2
                                        ;     Child Loop BB4_65 Depth 2
                                        ;       Child Loop BB4_68 Depth 3
	v_add_u32_e32 v22, s38, v0
	v_cmp_le_i32_e32 vcc, s15, v22
	v_cmp_gt_i32_e64 s[0:1], s15, v22
	s_and_saveexec_b64 s[4:5], s[0:1]
	s_cbranch_execz .LBB4_50
; %bb.49:                               ;   in Loop: Header=BB4_48 Depth=1
	v_mad_u64_u32 v[9:10], s[2:3], s10, v22, 0
	v_mov_b32_e32 v1, v10
	v_mad_u64_u32 v[10:11], s[2:3], s11, v22, v[1:2]
	v_mov_b32_e32 v1, s55
	v_lshlrev_b64 v[9:10], 3, v[9:10]
	v_add_co_u32_e64 v9, s[2:3], s54, v9
	v_addc_co_u32_e64 v10, s[2:3], v1, v10, s[2:3]
	global_load_dwordx2 v[9:10], v[9:10], off
	s_waitcnt vmcnt(0)
	ds_write_b64 v19, v[9:10]
.LBB4_50:                               ;   in Loop: Header=BB4_48 Depth=1
	s_or_b64 exec, exec, s[4:5]
	v_lshlrev_b64 v[9:10], 2, v[3:4]
	v_mov_b32_e32 v1, s37
	v_and_b32_e32 v9, -8, v9
	v_add_co_u32_e64 v9, s[2:3], s36, v9
	v_addc_co_u32_e64 v10, s[2:3], v1, v10, s[2:3]
	v_or_b32_e32 v1, s38, v0
	v_add_u32_e32 v11, 1, v1
	v_mad_u64_u32 v[11:12], s[2:3], v11, v1, 0
	v_cmp_le_i32_e64 s[2:3], s15, v1
	s_mov_b32 s30, 0
	v_lshlrev_b64 v[11:12], 2, v[11:12]
	s_movk_i32 s31, 0x1000
	v_and_b32_e32 v11, -8, v11
	v_add_co_u32_e64 v13, s[4:5], s33, v11
	v_addc_co_u32_e64 v14, s[4:5], v21, v12, s[4:5]
	v_lshlrev_b64 v[11:12], 3, v[1:2]
	s_waitcnt lgkmcnt(0)
	v_add_co_u32_e64 v11, s[4:5], v13, v11
	v_addc_co_u32_e64 v12, s[4:5], v14, v12, s[4:5]
	s_xor_b64 s[4:5], vcc, -1
	s_barrier
	s_branch .LBB4_52
.LBB4_51:                               ;   in Loop: Header=BB4_52 Depth=2
	s_or_b64 exec, exec, s[26:27]
	s_add_i32 s30, s30, 1
	s_add_i32 s31, s31, 8
	v_add_co_u32_e32 v9, vcc, 8, v9
	s_cmpk_eq_i32 s30, 0x200
	v_addc_co_u32_e32 v10, vcc, 0, v10, vcc
	s_cbranch_scc1 .LBB4_61
.LBB4_52:                               ;   Parent Loop BB4_48 Depth=1
                                        ; =>  This Inner Loop Header: Depth=2
	v_cmp_ne_u32_e32 vcc, s30, v0
	s_or_b64 s[26:27], s[12:13], vcc
	s_nor_b64 s[28:29], s[26:27], s[2:3]
	s_and_saveexec_b64 s[26:27], s[28:29]
	s_cbranch_execz .LBB4_58
; %bb.53:                               ;   in Loop: Header=BB4_52 Depth=2
	global_load_dwordx2 v[15:16], v[11:12], off
	ds_read_b64 v[13:14], v19
                                        ; implicit-def: $vgpr17
	s_waitcnt vmcnt(0)
	v_cmp_ngt_f32_e64 s[28:29], |v15|, |v16|
	s_and_saveexec_b64 s[34:35], s[28:29]
	s_xor_b64 s[28:29], exec, s[34:35]
	s_cbranch_execz .LBB4_55
; %bb.54:                               ;   in Loop: Header=BB4_52 Depth=2
	v_div_scale_f32 v1, s[34:35], -v16, -v16, v15
	v_div_scale_f32 v17, vcc, v15, -v16, v15
	v_rcp_f32_e32 v18, v1
	v_fma_f32 v23, -v1, v18, 1.0
	v_fmac_f32_e32 v18, v23, v18
	v_mul_f32_e32 v23, v17, v18
	v_fma_f32 v24, -v1, v23, v17
	v_fmac_f32_e32 v23, v24, v18
	v_fma_f32 v1, -v1, v23, v17
	v_div_fmas_f32 v1, v1, v18, v23
	v_div_fixup_f32 v1, v1, -v16, v15
	v_fma_f32 v15, v15, v1, -v16
	v_div_scale_f32 v16, s[34:35], v15, v15, 1.0
	v_div_scale_f32 v17, vcc, 1.0, v15, 1.0
	v_rcp_f32_e32 v18, v16
	v_fma_f32 v23, -v16, v18, 1.0
	v_fmac_f32_e32 v18, v23, v18
	v_mul_f32_e32 v23, v17, v18
	v_fma_f32 v24, -v16, v23, v17
	v_fmac_f32_e32 v23, v24, v18
	v_fma_f32 v16, -v16, v23, v17
	v_div_fmas_f32 v16, v16, v18, v23
	s_waitcnt lgkmcnt(0)
	v_fma_f32 v17, v1, v13, v14
	v_fma_f32 v1, v1, v14, -v13
	v_div_fixup_f32 v13, v16, v15, 1.0
	v_mul_f32_e32 v17, v13, v17
	v_mul_f32_e32 v18, v13, v1
                                        ; implicit-def: $vgpr15_vgpr16
                                        ; implicit-def: $vgpr13_vgpr14
.LBB4_55:                               ;   in Loop: Header=BB4_52 Depth=2
	s_andn2_saveexec_b64 s[28:29], s[28:29]
	s_cbranch_execz .LBB4_57
; %bb.56:                               ;   in Loop: Header=BB4_52 Depth=2
	v_div_scale_f32 v1, s[34:35], v15, v15, -v16
	v_div_scale_f32 v17, vcc, -v16, v15, -v16
	v_rcp_f32_e32 v18, v1
	v_fma_f32 v23, -v1, v18, 1.0
	v_fmac_f32_e32 v18, v23, v18
	v_mul_f32_e32 v23, v17, v18
	v_fma_f32 v24, -v1, v23, v17
	v_fmac_f32_e32 v23, v24, v18
	v_fma_f32 v1, -v1, v23, v17
	v_div_fmas_f32 v1, v1, v18, v23
	v_div_fixup_f32 v1, v1, v15, -v16
	v_fma_f32 v15, -v16, v1, v15
	v_div_scale_f32 v16, s[34:35], v15, v15, 1.0
	v_div_scale_f32 v17, vcc, 1.0, v15, 1.0
	v_rcp_f32_e32 v18, v16
	v_fma_f32 v23, -v16, v18, 1.0
	v_fmac_f32_e32 v18, v23, v18
	v_mul_f32_e32 v23, v17, v18
	v_fma_f32 v24, -v16, v23, v17
	v_fmac_f32_e32 v23, v24, v18
	v_fma_f32 v16, -v16, v23, v17
	v_div_fmas_f32 v16, v16, v18, v23
	s_waitcnt lgkmcnt(0)
	v_fma_f32 v17, v1, v14, v13
	v_fma_f32 v1, -v1, v13, v14
	v_div_fixup_f32 v13, v16, v15, 1.0
	v_mul_f32_e32 v17, v13, v17
	v_mul_f32_e32 v18, v13, v1
.LBB4_57:                               ;   in Loop: Header=BB4_52 Depth=2
	s_or_b64 exec, exec, s[28:29]
	ds_write_b64 v19, v[17:18]
.LBB4_58:                               ;   in Loop: Header=BB4_52 Depth=2
	s_or_b64 exec, exec, s[26:27]
	v_cmp_lt_u32_e32 vcc, s30, v0
	s_waitcnt lgkmcnt(0)
	s_barrier
	s_and_saveexec_b64 s[26:27], vcc
	s_cbranch_execz .LBB4_51
; %bb.59:                               ;   in Loop: Header=BB4_52 Depth=2
	s_add_i32 s28, s38, s30
	s_cmp_lt_i32 s28, s15
	s_cselect_b64 s[28:29], -1, 0
	s_and_b64 s[28:29], s[4:5], s[28:29]
	s_and_b64 exec, exec, s[28:29]
	s_cbranch_execz .LBB4_51
; %bb.60:                               ;   in Loop: Header=BB4_52 Depth=2
	global_load_dwordx2 v[13:14], v[9:10], off offset:-4
	v_mov_b32_e32 v1, s31
	ds_read_b64 v[15:16], v1
	ds_read_b64 v[17:18], v19
	s_waitcnt vmcnt(0) lgkmcnt(1)
	v_mul_f32_e32 v1, v14, v16
	v_mul_f32_e32 v14, v14, v15
	v_fmac_f32_e32 v1, v13, v15
	v_fma_f32 v14, v13, v16, -v14
	s_waitcnt lgkmcnt(0)
	v_sub_f32_e32 v13, v17, v1
	v_sub_f32_e32 v14, v18, v14
	ds_write_b64 v19, v[13:14]
	s_branch .LBB4_51
.LBB4_61:                               ;   in Loop: Header=BB4_48 Depth=1
	s_add_i32 s39, s38, 0x200
	s_cmp_ge_i32 s39, s15
	s_cselect_b64 s[2:3], -1, 0
	s_and_b64 vcc, exec, s[2:3]
	s_waitcnt lgkmcnt(0)
	s_barrier
	s_cbranch_vccnz .LBB4_89
; %bb.62:                               ;   in Loop: Header=BB4_48 Depth=1
	v_mov_b32_e32 v10, v6
	s_mov_b64 s[4:5], 0
	v_mov_b32_e32 v1, v20
	v_mov_b32_e32 v9, v5
	;; [unrolled: 1-line block ×3, first 2 shown]
	s_mov_b32 s40, s39
                                        ; implicit-def: $sgpr26_sgpr27
	s_branch .LBB4_65
.LBB4_63:                               ;   in Loop: Header=BB4_65 Depth=2
	v_mad_u64_u32 v[11:12], s[30:31], s10, v15, 0
	s_addk_i32 s40, 0x200
	s_cmp_ge_i32 s40, s15
	v_mad_u64_u32 v[17:18], s[30:31], s11, v15, v[12:13]
	v_mov_b32_e32 v15, s55
	s_cselect_b64 s[30:31], -1, 0
	v_mov_b32_e32 v12, v17
	v_lshlrev_b64 v[11:12], 3, v[11:12]
	s_andn2_b64 s[26:27], s[26:27], exec
	v_add_co_u32_e32 v11, vcc, s54, v11
	v_addc_co_u32_e32 v12, vcc, v15, v12, vcc
	global_load_dwordx2 v[17:18], v[11:12], off
	v_add_co_u32_e32 v9, vcc, 0x200, v9
	s_and_b64 s[30:31], s[30:31], exec
	v_add_u32_e32 v1, 0x200, v1
	v_addc_co_u32_e32 v10, vcc, 0, v10, vcc
	s_or_b64 s[26:27], s[26:27], s[30:31]
	s_waitcnt vmcnt(0)
	v_sub_f32_e32 v15, v17, v16
	v_sub_f32_e32 v16, v18, v14
	global_store_dwordx2 v[11:12], v[15:16], off
.LBB4_64:                               ;   in Loop: Header=BB4_65 Depth=2
	s_or_b64 exec, exec, s[28:29]
	s_and_b64 s[28:29], exec, s[26:27]
	s_or_b64 s[4:5], s[28:29], s[4:5]
	s_andn2_b64 exec, exec, s[4:5]
	s_cbranch_execz .LBB4_88
.LBB4_65:                               ;   Parent Loop BB4_48 Depth=1
                                        ; =>  This Loop Header: Depth=2
                                        ;       Child Loop BB4_68 Depth 3
	v_add_u32_e32 v15, s40, v0
	v_cmp_gt_i32_e32 vcc, s15, v15
	s_or_b64 s[26:27], s[26:27], exec
	s_and_saveexec_b64 s[28:29], vcc
	s_cbranch_execz .LBB4_64
; %bb.66:                               ;   in Loop: Header=BB4_65 Depth=2
	v_mad_u64_u32 v[11:12], s[30:31], v9, v1, 0
	v_add_u32_e32 v17, 0x1fd, v13
	v_add_u32_e32 v18, 0x1fe, v13
	v_mad_u64_u32 v[24:25], s[30:31], v10, v1, v[12:13]
	v_add_u32_e32 v23, 0x1ff, v13
	v_add_u32_e32 v13, 0x200, v13
	v_mov_b32_e32 v12, v24
	v_lshlrev_b64 v[11:12], 2, v[11:12]
	v_mov_b32_e32 v14, 0
	v_and_b32_e32 v11, -8, v11
	s_mov_b32 s41, 0
	s_movk_i32 s42, 0x1000
	s_mov_b64 s[30:31], s[8:9]
	v_mov_b32_e32 v16, 0
	s_branch .LBB4_68
.LBB4_67:                               ;   in Loop: Header=BB4_68 Depth=3
	s_or_b64 exec, exec, s[34:35]
	s_add_i32 s41, s41, 4
	s_add_i32 s42, s42, 32
	s_add_u32 s30, s30, 32
	s_addc_u32 s31, s31, 0
	s_cmpk_eq_i32 s41, 0x200
	s_cbranch_scc1 .LBB4_63
.LBB4_68:                               ;   Parent Loop BB4_48 Depth=1
                                        ;     Parent Loop BB4_65 Depth=2
                                        ; =>    This Inner Loop Header: Depth=3
	v_cmp_ne_u32_e32 vcc, s41, v13
	s_add_i32 s43, s38, s41
	s_or_b64 s[34:35], s[24:25], vcc
	s_and_saveexec_b64 s[44:45], s[34:35]
	s_xor_b64 s[34:35], exec, s[44:45]
	s_cbranch_execz .LBB4_71
; %bb.69:                               ;   in Loop: Header=BB4_68 Depth=3
	s_cmp_ge_i32 s43, s15
	s_cbranch_scc1 .LBB4_71
; %bb.70:                               ;   in Loop: Header=BB4_68 Depth=3
	v_mov_b32_e32 v25, s31
	v_add_co_u32_e32 v24, vcc, s30, v11
	v_addc_co_u32_e32 v25, vcc, v25, v12, vcc
	global_load_dwordx2 v[24:25], v[24:25], off offset:-28
	v_mov_b32_e32 v26, s42
	ds_read_b64 v[26:27], v26
	s_waitcnt vmcnt(0) lgkmcnt(0)
	v_mul_f32_e32 v28, v25, v27
	v_mul_f32_e32 v25, v25, v26
	v_fmac_f32_e32 v28, v24, v26
	v_fma_f32 v24, v24, v27, -v25
	v_add_f32_e32 v16, v16, v28
	v_add_f32_e32 v14, v14, v24
.LBB4_71:                               ;   in Loop: Header=BB4_68 Depth=3
	s_andn2_saveexec_b64 s[34:35], s[34:35]
	s_cbranch_execz .LBB4_73
; %bb.72:                               ;   in Loop: Header=BB4_68 Depth=3
	v_mov_b32_e32 v24, s42
	ds_read_b64 v[24:25], v24
	s_waitcnt lgkmcnt(0)
	v_add_f32_e32 v16, v16, v24
	v_add_f32_e32 v14, v14, v25
.LBB4_73:                               ;   in Loop: Header=BB4_68 Depth=3
	s_or_b64 exec, exec, s[34:35]
	v_cmp_ne_u32_e32 vcc, s41, v23
	s_or_b64 s[34:35], s[24:25], vcc
	s_and_saveexec_b64 s[44:45], s[34:35]
	s_xor_b64 s[34:35], exec, s[44:45]
	s_cbranch_execz .LBB4_76
; %bb.74:                               ;   in Loop: Header=BB4_68 Depth=3
	s_add_i32 s44, s43, 1
	s_cmp_ge_i32 s44, s15
	s_cbranch_scc1 .LBB4_76
; %bb.75:                               ;   in Loop: Header=BB4_68 Depth=3
	v_mov_b32_e32 v25, s31
	v_add_co_u32_e32 v24, vcc, s30, v11
	v_addc_co_u32_e32 v25, vcc, v25, v12, vcc
	global_load_dwordx2 v[24:25], v[24:25], off offset:-20
	v_mov_b32_e32 v26, s42
	ds_read_b64 v[26:27], v26 offset:8
	s_waitcnt vmcnt(0) lgkmcnt(0)
	v_mul_f32_e32 v28, v25, v27
	v_mul_f32_e32 v25, v25, v26
	v_fmac_f32_e32 v28, v24, v26
	v_fma_f32 v24, v24, v27, -v25
	v_add_f32_e32 v16, v16, v28
	v_add_f32_e32 v14, v14, v24
.LBB4_76:                               ;   in Loop: Header=BB4_68 Depth=3
	s_andn2_saveexec_b64 s[34:35], s[34:35]
	s_cbranch_execz .LBB4_78
; %bb.77:                               ;   in Loop: Header=BB4_68 Depth=3
	v_mov_b32_e32 v24, s42
	ds_read_b64 v[24:25], v24 offset:8
	s_waitcnt lgkmcnt(0)
	v_add_f32_e32 v16, v16, v24
	v_add_f32_e32 v14, v14, v25
.LBB4_78:                               ;   in Loop: Header=BB4_68 Depth=3
	s_or_b64 exec, exec, s[34:35]
	v_cmp_ne_u32_e32 vcc, s41, v18
	s_or_b64 s[34:35], s[24:25], vcc
	s_and_saveexec_b64 s[44:45], s[34:35]
	s_xor_b64 s[34:35], exec, s[44:45]
	s_cbranch_execz .LBB4_81
; %bb.79:                               ;   in Loop: Header=BB4_68 Depth=3
	s_add_i32 s44, s43, 2
	s_cmp_ge_i32 s44, s15
	s_cbranch_scc1 .LBB4_81
; %bb.80:                               ;   in Loop: Header=BB4_68 Depth=3
	v_mov_b32_e32 v25, s31
	v_add_co_u32_e32 v24, vcc, s30, v11
	v_addc_co_u32_e32 v25, vcc, v25, v12, vcc
	global_load_dwordx2 v[24:25], v[24:25], off offset:-12
	v_mov_b32_e32 v26, s42
	ds_read_b64 v[26:27], v26 offset:16
	s_waitcnt vmcnt(0) lgkmcnt(0)
	v_mul_f32_e32 v28, v25, v27
	v_mul_f32_e32 v25, v25, v26
	v_fmac_f32_e32 v28, v24, v26
	v_fma_f32 v24, v24, v27, -v25
	v_add_f32_e32 v16, v16, v28
	v_add_f32_e32 v14, v14, v24
.LBB4_81:                               ;   in Loop: Header=BB4_68 Depth=3
	s_andn2_saveexec_b64 s[34:35], s[34:35]
	s_cbranch_execz .LBB4_83
; %bb.82:                               ;   in Loop: Header=BB4_68 Depth=3
	v_mov_b32_e32 v24, s42
	ds_read_b64 v[24:25], v24 offset:16
	s_waitcnt lgkmcnt(0)
	v_add_f32_e32 v16, v16, v24
	v_add_f32_e32 v14, v14, v25
.LBB4_83:                               ;   in Loop: Header=BB4_68 Depth=3
	s_or_b64 exec, exec, s[34:35]
	v_cmp_ne_u32_e32 vcc, s41, v17
	s_or_b64 s[34:35], s[24:25], vcc
	s_and_saveexec_b64 s[44:45], s[34:35]
	s_xor_b64 s[34:35], exec, s[44:45]
	s_cbranch_execz .LBB4_86
; %bb.84:                               ;   in Loop: Header=BB4_68 Depth=3
	s_add_i32 s43, s43, 3
	s_cmp_ge_i32 s43, s15
	s_cbranch_scc1 .LBB4_86
; %bb.85:                               ;   in Loop: Header=BB4_68 Depth=3
	v_mov_b32_e32 v25, s31
	v_add_co_u32_e32 v24, vcc, s30, v11
	v_addc_co_u32_e32 v25, vcc, v25, v12, vcc
	global_load_dwordx2 v[24:25], v[24:25], off offset:-4
	v_mov_b32_e32 v26, s42
	ds_read_b64 v[26:27], v26 offset:24
	s_waitcnt vmcnt(0) lgkmcnt(0)
	v_mul_f32_e32 v28, v25, v27
	v_mul_f32_e32 v25, v25, v26
	v_fmac_f32_e32 v28, v24, v26
	v_fma_f32 v24, v24, v27, -v25
	v_add_f32_e32 v16, v16, v28
	v_add_f32_e32 v14, v14, v24
.LBB4_86:                               ;   in Loop: Header=BB4_68 Depth=3
	s_andn2_saveexec_b64 s[34:35], s[34:35]
	s_cbranch_execz .LBB4_67
; %bb.87:                               ;   in Loop: Header=BB4_68 Depth=3
	v_mov_b32_e32 v24, s42
	ds_read_b64 v[24:25], v24 offset:24
	s_waitcnt lgkmcnt(0)
	v_add_f32_e32 v16, v16, v24
	v_add_f32_e32 v14, v14, v25
	s_branch .LBB4_67
.LBB4_88:                               ;   in Loop: Header=BB4_48 Depth=1
	s_or_b64 exec, exec, s[4:5]
.LBB4_89:                               ;   in Loop: Header=BB4_48 Depth=1
	s_and_saveexec_b64 s[4:5], s[0:1]
	s_cbranch_execz .LBB4_47
; %bb.90:                               ;   in Loop: Header=BB4_48 Depth=1
	v_mad_u64_u32 v[9:10], s[0:1], s10, v22, 0
	v_mov_b32_e32 v1, v10
	v_mad_u64_u32 v[10:11], s[0:1], s11, v22, v[1:2]
	ds_read_b64 v[11:12], v19
	v_mov_b32_e32 v1, s55
	v_lshlrev_b64 v[9:10], 3, v[9:10]
	v_add_co_u32_e32 v9, vcc, s54, v9
	v_addc_co_u32_e32 v10, vcc, v1, v10, vcc
	s_waitcnt lgkmcnt(0)
	global_store_dwordx2 v[9:10], v[11:12], off
	s_branch .LBB4_47
.LBB4_91:
	s_mov_b64 s[0:1], 0
.LBB4_92:
	s_andn2_b64 vcc, exec, s[0:1]
	s_cbranch_vccnz .LBB4_166
; %bb.93:
	s_mov_b64 s[0:1], -1
	s_and_b64 vcc, exec, s[20:21]
	s_cbranch_vccz .LBB4_132
; %bb.94:
	s_andn2_b64 vcc, exec, s[6:7]
	s_cbranch_vccnz .LBB4_131
; %bb.95:
	s_lshl_b32 s8, s15, 1
	s_or_b32 s56, s8, 1
	s_ashr_i32 s9, s8, 31
	s_add_u32 s0, s18, s22
	s_addc_u32 s1, s19, s23
	s_add_u32 s57, s16, s0
	s_addc_u32 s2, s17, s1
	s_lshl_b64 s[0:1], s[8:9], 9
	s_add_u32 s28, s0, 0xfffc0200
	s_addc_u32 s29, s1, -1
	s_add_u32 s58, s57, -8
	s_addc_u32 s59, s2, -1
	s_add_u32 s22, s0, 0xfffbfe00
	s_addc_u32 s23, s1, -1
	s_lshl_b64 s[0:1], s[8:9], 1
	s_add_u32 s16, s0, -6
	v_lshlrev_b32_e32 v14, 3, v0
	s_addc_u32 s17, s1, -1
	v_mov_b32_e32 v15, s2
	v_add_co_u32_e32 v2, vcc, s57, v14
	s_add_u32 s18, s0, -2
	v_mov_b32_e32 v1, 0
	v_addc_co_u32_e32 v3, vcc, 0, v15, vcc
	v_or_b32_e32 v16, 0x200, v0
	s_addc_u32 s19, s1, -1
	s_mov_b64 s[20:21], 0
	v_mov_b32_e32 v17, s14
	s_mov_b64 s[24:25], 0
	s_mov_b64 s[26:27], s[8:9]
	;; [unrolled: 1-line block ×3, first 2 shown]
	s_branch .LBB4_97
.LBB4_96:                               ;   in Loop: Header=BB4_97 Depth=1
	s_or_b64 exec, exec, s[30:31]
	s_add_u32 s0, s28, 0xfff80000
	s_addc_u32 s1, s29, -1
	s_add_u32 s20, s20, s28
	s_addc_u32 s21, s21, s29
	s_add_u32 s26, s26, 0xfffffc00
	s_addc_u32 s27, s27, -1
	s_add_u32 s24, s24, 0xfffffe00
	s_addc_u32 s25, s25, -1
	;; [unrolled: 2-line block ×3, first 2 shown]
	s_add_u32 s8, s8, s22
	s_addc_u32 s9, s9, s23
	s_add_u32 s16, s16, 0xfffff800
	s_addc_u32 s17, s17, -1
	s_add_u32 s18, s18, 0xfffff800
	v_add_u32_e32 v16, 0x200, v16
	s_addc_u32 s19, s19, -1
	s_and_b64 vcc, exec, s[4:5]
	s_mov_b64 s[22:23], s[28:29]
	s_mov_b64 s[28:29], s[0:1]
	;; [unrolled: 1-line block ×3, first 2 shown]
	s_waitcnt vmcnt(0)
	s_barrier
	s_cbranch_vccnz .LBB4_131
.LBB4_97:                               ; =>This Loop Header: Depth=1
                                        ;     Child Loop BB4_101 Depth 2
                                        ;     Child Loop BB4_114 Depth 2
                                        ;       Child Loop BB4_116 Depth 3
	v_add_u32_e32 v18, s30, v0
	v_cmp_le_i32_e32 vcc, s15, v18
	v_cmp_gt_i32_e64 s[0:1], s15, v18
	s_and_saveexec_b64 s[4:5], s[0:1]
	s_cbranch_execz .LBB4_99
; %bb.98:                               ;   in Loop: Header=BB4_97 Depth=1
	v_mad_u64_u32 v[4:5], s[2:3], s10, v18, 0
	v_mad_u64_u32 v[5:6], s[2:3], s11, v18, v[5:6]
	v_mov_b32_e32 v6, s55
	v_lshlrev_b64 v[4:5], 3, v[4:5]
	v_add_co_u32_e64 v4, s[2:3], s54, v4
	v_addc_co_u32_e64 v5, s[2:3], v6, v5, s[2:3]
	global_load_dwordx2 v[4:5], v[4:5], off
	s_waitcnt vmcnt(0)
	ds_write_b64 v14, v[4:5]
.LBB4_99:                               ;   in Loop: Header=BB4_97 Depth=1
	s_or_b64 exec, exec, s[4:5]
	v_or_b32_e32 v7, s30, v0
	v_sub_u32_e32 v6, s56, v7
	v_mad_u64_u32 v[4:5], s[2:3], v6, v7, 0
	v_ashrrev_i32_e32 v6, 31, v6
	s_mov_b32 s44, 0
	v_mad_u64_u32 v[5:6], s[2:3], v6, v7, v[5:6]
	v_cmp_le_i32_e64 s[2:3], s15, v7
	v_mov_b32_e32 v7, v3
	v_lshlrev_b64 v[4:5], 2, v[4:5]
	s_xor_b64 s[34:35], vcc, -1
	v_and_b32_e32 v4, -8, v4
	v_add_co_u32_e64 v4, s[4:5], s33, v4
	v_addc_co_u32_e64 v5, s[4:5], v17, v5, s[4:5]
	s_mov_b64 s[4:5], 0
	s_mov_b64 s[36:37], s[20:21]
	;; [unrolled: 1-line block ×3, first 2 shown]
	v_mov_b32_e32 v6, v2
	s_waitcnt lgkmcnt(0)
	s_barrier
	s_branch .LBB4_101
.LBB4_100:                              ;   in Loop: Header=BB4_101 Depth=2
	s_or_b64 exec, exec, s[40:41]
	s_add_u32 s4, s4, 1
	s_addc_u32 s5, s5, 0
	s_add_u32 s40, s38, -2
	s_addc_u32 s41, s39, -1
	s_add_u32 s36, s36, s38
	v_add_co_u32_e32 v6, vcc, -8, v6
	s_addc_u32 s37, s37, s39
	s_add_i32 s44, s44, 8
	v_addc_co_u32_e32 v7, vcc, -1, v7, vcc
	s_cmpk_eq_i32 s4, 0x200
	s_mov_b64 s[38:39], s[40:41]
	s_cbranch_scc1 .LBB4_110
.LBB4_101:                              ;   Parent Loop BB4_97 Depth=1
                                        ; =>  This Inner Loop Header: Depth=2
	v_cmp_ne_u32_e32 vcc, s4, v0
	s_or_b64 s[40:41], s[12:13], vcc
	s_nor_b64 s[42:43], s[40:41], s[2:3]
	s_and_saveexec_b64 s[40:41], s[42:43]
	s_cbranch_execz .LBB4_107
; %bb.102:                              ;   in Loop: Header=BB4_101 Depth=2
	global_load_dwordx2 v[8:9], v[4:5], off
	ds_read_b64 v[10:11], v14
                                        ; implicit-def: $vgpr12
	s_waitcnt vmcnt(0)
	v_cmp_ngt_f32_e64 s[42:43], |v8|, |v9|
	s_and_saveexec_b64 s[46:47], s[42:43]
	s_xor_b64 s[42:43], exec, s[46:47]
	s_cbranch_execz .LBB4_104
; %bb.103:                              ;   in Loop: Header=BB4_101 Depth=2
	v_div_scale_f32 v12, s[46:47], v9, v9, v8
	v_div_scale_f32 v13, vcc, v8, v9, v8
	v_rcp_f32_e32 v19, v12
	v_fma_f32 v20, -v12, v19, 1.0
	v_fmac_f32_e32 v19, v20, v19
	v_mul_f32_e32 v20, v13, v19
	v_fma_f32 v21, -v12, v20, v13
	v_fmac_f32_e32 v20, v21, v19
	v_fma_f32 v12, -v12, v20, v13
	v_div_fmas_f32 v12, v12, v19, v20
	v_div_fixup_f32 v12, v12, v9, v8
	v_fmac_f32_e32 v9, v8, v12
	v_div_scale_f32 v8, s[46:47], v9, v9, 1.0
	v_div_scale_f32 v13, vcc, 1.0, v9, 1.0
	v_rcp_f32_e32 v19, v8
	v_fma_f32 v20, -v8, v19, 1.0
	v_fmac_f32_e32 v19, v20, v19
	v_mul_f32_e32 v20, v13, v19
	v_fma_f32 v21, -v8, v20, v13
	v_fmac_f32_e32 v20, v21, v19
	v_fma_f32 v8, -v8, v20, v13
	v_div_fmas_f32 v8, v8, v19, v20
	s_waitcnt lgkmcnt(0)
	v_fma_f32 v13, v12, v10, v11
	v_fma_f32 v10, v12, v11, -v10
	v_div_fixup_f32 v8, v8, v9, 1.0
	v_mul_f32_e32 v12, v8, v13
	v_mul_f32_e32 v13, v8, v10
                                        ; implicit-def: $vgpr8_vgpr9
                                        ; implicit-def: $vgpr10_vgpr11
.LBB4_104:                              ;   in Loop: Header=BB4_101 Depth=2
	s_andn2_saveexec_b64 s[42:43], s[42:43]
	s_cbranch_execz .LBB4_106
; %bb.105:                              ;   in Loop: Header=BB4_101 Depth=2
	v_div_scale_f32 v12, s[46:47], v8, v8, v9
	v_div_scale_f32 v13, vcc, v9, v8, v9
	v_rcp_f32_e32 v19, v12
	v_fma_f32 v20, -v12, v19, 1.0
	v_fmac_f32_e32 v19, v20, v19
	v_mul_f32_e32 v20, v13, v19
	v_fma_f32 v21, -v12, v20, v13
	v_fmac_f32_e32 v20, v21, v19
	v_fma_f32 v12, -v12, v20, v13
	v_div_fmas_f32 v12, v12, v19, v20
	v_div_fixup_f32 v12, v12, v8, v9
	v_fmac_f32_e32 v8, v9, v12
	v_div_scale_f32 v9, s[46:47], v8, v8, 1.0
	v_div_scale_f32 v13, vcc, 1.0, v8, 1.0
	v_rcp_f32_e32 v19, v9
	v_fma_f32 v20, -v9, v19, 1.0
	v_fmac_f32_e32 v19, v20, v19
	v_mul_f32_e32 v20, v13, v19
	v_fma_f32 v21, -v9, v20, v13
	v_fmac_f32_e32 v20, v21, v19
	v_fma_f32 v9, -v9, v20, v13
	v_div_fmas_f32 v9, v9, v19, v20
	s_waitcnt lgkmcnt(0)
	v_fma_f32 v13, v12, v11, v10
	v_fma_f32 v10, -v12, v10, v11
	v_div_fixup_f32 v8, v9, v8, 1.0
	v_mul_f32_e32 v12, v8, v13
	v_mul_f32_e32 v13, v8, v10
.LBB4_106:                              ;   in Loop: Header=BB4_101 Depth=2
	s_or_b64 exec, exec, s[42:43]
	ds_write_b64 v14, v[12:13]
.LBB4_107:                              ;   in Loop: Header=BB4_101 Depth=2
	s_or_b64 exec, exec, s[40:41]
	v_cmp_lt_u32_e32 vcc, s4, v0
	s_waitcnt lgkmcnt(0)
	s_barrier
	s_and_saveexec_b64 s[40:41], vcc
	s_cbranch_execz .LBB4_100
; %bb.108:                              ;   in Loop: Header=BB4_101 Depth=2
	s_add_i32 s42, s30, s4
	s_cmp_lt_i32 s42, s15
	s_cselect_b64 s[42:43], -1, 0
	s_and_b64 s[42:43], s[34:35], s[42:43]
	s_and_b64 exec, exec, s[42:43]
	s_cbranch_execz .LBB4_100
; %bb.109:                              ;   in Loop: Header=BB4_101 Depth=2
	s_lshl_b64 s[42:43], s[36:37], 2
	s_and_b32 s42, s42, -8
	v_mov_b32_e32 v9, s43
	v_add_co_u32_e32 v8, vcc, s42, v6
	v_addc_co_u32_e32 v9, vcc, v7, v9, vcc
	global_load_dwordx2 v[8:9], v[8:9], off
	v_mov_b32_e32 v10, s44
	ds_read_b64 v[10:11], v10
	ds_read_b64 v[12:13], v14
	s_waitcnt vmcnt(0) lgkmcnt(1)
	v_mul_f32_e32 v19, v11, v9
	v_mul_f32_e32 v9, v10, v9
	v_fma_f32 v10, v10, v8, -v19
	v_fmac_f32_e32 v9, v11, v8
	s_waitcnt lgkmcnt(0)
	v_sub_f32_e32 v8, v12, v10
	v_sub_f32_e32 v9, v13, v9
	ds_write_b64 v14, v[8:9]
	s_branch .LBB4_100
.LBB4_110:                              ;   in Loop: Header=BB4_97 Depth=1
	s_add_u32 s2, s30, 0x200
	s_addc_u32 s3, s31, 0
	s_cmp_ge_i32 s2, s15
	s_cselect_b64 s[4:5], -1, 0
	s_and_b64 vcc, exec, s[4:5]
	s_waitcnt lgkmcnt(0)
	s_barrier
	s_cbranch_vccnz .LBB4_129
; %bb.111:                              ;   in Loop: Header=BB4_97 Depth=1
	v_ashrrev_i32_e32 v5, 31, v16
	v_mov_b32_e32 v6, s25
	v_add_co_u32_e32 v4, vcc, s24, v16
	v_addc_co_u32_e32 v5, vcc, v6, v5, vcc
	v_lshlrev_b64 v[6:7], 3, v[4:5]
	v_mov_b32_e32 v5, s59
	v_add_co_u32_e32 v4, vcc, s58, v6
	v_addc_co_u32_e32 v5, vcc, v5, v7, vcc
	v_add_co_u32_e32 v6, vcc, s57, v6
	v_mov_b32_e32 v9, v1
	s_mov_b32 s31, s2
	v_addc_co_u32_e32 v7, vcc, v15, v7, vcc
	s_mov_b64 s[34:35], 0
	v_mov_b32_e32 v8, v0
                                        ; implicit-def: $sgpr36_sgpr37
	s_branch .LBB4_114
.LBB4_112:                              ;   in Loop: Header=BB4_114 Depth=2
	v_mad_u64_u32 v[10:11], s[40:41], s10, v21, 0
	s_addk_i32 s31, 0x200
	s_cmp_ge_i32 s31, s15
	v_mad_u64_u32 v[11:12], s[40:41], s11, v21, v[11:12]
	v_mov_b32_e32 v12, s55
	s_cselect_b64 s[40:41], -1, 0
	v_lshlrev_b64 v[10:11], 3, v[10:11]
	s_andn2_b64 s[36:37], s[36:37], exec
	v_add_co_u32_e32 v10, vcc, s54, v10
	v_addc_co_u32_e32 v11, vcc, v12, v11, vcc
	global_load_dwordx2 v[12:13], v[10:11], off
	v_add_co_u32_e32 v4, vcc, 0x1000, v4
	v_addc_co_u32_e32 v5, vcc, 0, v5, vcc
	v_add_co_u32_e32 v6, vcc, 0x1000, v6
	s_and_b64 s[40:41], s[40:41], exec
	v_addc_co_u32_e32 v7, vcc, 0, v7, vcc
	s_or_b64 s[36:37], s[36:37], s[40:41]
	s_waitcnt vmcnt(0)
	v_sub_f32_e32 v12, v12, v20
	v_sub_f32_e32 v13, v13, v19
	global_store_dwordx2 v[10:11], v[12:13], off
.LBB4_113:                              ;   in Loop: Header=BB4_114 Depth=2
	s_or_b64 exec, exec, s[38:39]
	s_and_b64 s[38:39], exec, s[36:37]
	s_or_b64 s[34:35], s[38:39], s[34:35]
	s_andn2_b64 exec, exec, s[34:35]
	s_cbranch_execz .LBB4_128
.LBB4_114:                              ;   Parent Loop BB4_97 Depth=1
                                        ; =>  This Loop Header: Depth=2
                                        ;       Child Loop BB4_116 Depth 3
	v_add_u32_e32 v21, s31, v0
	v_cmp_gt_i32_e32 vcc, s15, v21
	s_or_b64 s[36:37], s[36:37], exec
	s_and_saveexec_b64 s[38:39], vcc
	s_cbranch_execz .LBB4_113
; %bb.115:                              ;   in Loop: Header=BB4_114 Depth=2
	v_add_co_u32_e32 v22, vcc, 0x1ff, v8
	v_add_co_u32_e32 v8, vcc, 0x200, v8
	v_mov_b32_e32 v11, v7
	v_mov_b32_e32 v13, v5
	v_addc_co_u32_e32 v9, vcc, 0, v9, vcc
	v_mov_b32_e32 v19, 0
	s_mov_b64 s[40:41], 0
	s_mov_b32 s60, 0
	s_mov_b64 s[42:43], s[20:21]
	s_mov_b64 s[46:47], s[18:19]
	v_mov_b32_e32 v10, v6
	s_mov_b64 s[44:45], s[8:9]
	s_mov_b64 s[48:49], s[16:17]
	v_mov_b32_e32 v12, v4
	v_mov_b32_e32 v20, 0
.LBB4_116:                              ;   Parent Loop BB4_97 Depth=1
                                        ;     Parent Loop BB4_114 Depth=2
                                        ; =>    This Inner Loop Header: Depth=3
	v_cmp_ne_u32_e32 vcc, s40, v8
	s_xor_b64 s[50:51], s[12:13], -1
	s_add_u32 s61, s30, s40
	s_or_b64 s[52:53], s[50:51], vcc
	s_and_saveexec_b64 s[62:63], s[52:53]
	s_xor_b64 s[52:53], exec, s[62:63]
	s_cbranch_execz .LBB4_119
; %bb.117:                              ;   in Loop: Header=BB4_116 Depth=3
	s_cmp_ge_i32 s61, s15
	s_cbranch_scc1 .LBB4_119
; %bb.118:                              ;   in Loop: Header=BB4_116 Depth=3
	s_lshl_b64 s[62:63], s[42:43], 2
	s_and_b32 s62, s62, -8
	v_mov_b32_e32 v24, s63
	v_add_co_u32_e32 v23, vcc, s62, v10
	v_addc_co_u32_e32 v24, vcc, v11, v24, vcc
	global_load_dwordx2 v[23:24], v[23:24], off
	v_mov_b32_e32 v25, s60
	ds_read_b64 v[25:26], v25
	s_waitcnt vmcnt(0) lgkmcnt(0)
	v_mul_f32_e32 v27, v26, v24
	v_mul_f32_e32 v24, v25, v24
	v_fma_f32 v25, v25, v23, -v27
	v_fmac_f32_e32 v24, v26, v23
	v_add_f32_e32 v20, v20, v25
	v_add_f32_e32 v19, v19, v24
.LBB4_119:                              ;   in Loop: Header=BB4_116 Depth=3
	s_andn2_saveexec_b64 s[52:53], s[52:53]
	s_cbranch_execz .LBB4_121
; %bb.120:                              ;   in Loop: Header=BB4_116 Depth=3
	v_mov_b32_e32 v23, s60
	ds_read_b64 v[23:24], v23
	s_waitcnt lgkmcnt(0)
	v_add_f32_e32 v20, v20, v23
	v_add_f32_e32 v19, v19, v24
.LBB4_121:                              ;   in Loop: Header=BB4_116 Depth=3
	s_or_b64 exec, exec, s[52:53]
	v_cmp_ne_u32_e32 vcc, s40, v22
	s_or_b64 s[50:51], s[50:51], vcc
	s_and_saveexec_b64 s[52:53], s[50:51]
	s_xor_b64 s[50:51], exec, s[52:53]
	s_cbranch_execz .LBB4_124
; %bb.122:                              ;   in Loop: Header=BB4_116 Depth=3
	s_add_i32 s61, s61, 1
	s_cmp_ge_i32 s61, s15
	s_cbranch_scc1 .LBB4_124
; %bb.123:                              ;   in Loop: Header=BB4_116 Depth=3
	s_lshl_b64 s[52:53], s[44:45], 2
	s_and_b32 s52, s52, -8
	v_mov_b32_e32 v24, s53
	v_add_co_u32_e32 v23, vcc, s52, v12
	v_addc_co_u32_e32 v24, vcc, v13, v24, vcc
	global_load_dwordx2 v[23:24], v[23:24], off
	v_mov_b32_e32 v25, s60
	ds_read_b64 v[25:26], v25 offset:8
	s_waitcnt vmcnt(0) lgkmcnt(0)
	v_mul_f32_e32 v27, v26, v24
	v_mul_f32_e32 v24, v25, v24
	v_fma_f32 v25, v25, v23, -v27
	v_fmac_f32_e32 v24, v26, v23
	v_add_f32_e32 v20, v20, v25
	v_add_f32_e32 v19, v19, v24
.LBB4_124:                              ;   in Loop: Header=BB4_116 Depth=3
	s_andn2_saveexec_b64 s[50:51], s[50:51]
	s_cbranch_execz .LBB4_126
; %bb.125:                              ;   in Loop: Header=BB4_116 Depth=3
	v_mov_b32_e32 v23, s60
	ds_read_b64 v[23:24], v23 offset:8
	s_waitcnt lgkmcnt(0)
	v_add_f32_e32 v20, v20, v23
	v_add_f32_e32 v19, v19, v24
.LBB4_126:                              ;   in Loop: Header=BB4_116 Depth=3
	s_or_b64 exec, exec, s[50:51]
	s_add_u32 s40, s40, 2
	s_addc_u32 s41, s41, 0
	s_add_i32 s60, s60, 16
	s_add_u32 s50, s48, -8
	s_addc_u32 s51, s49, -1
	s_add_u32 s44, s44, s48
	s_addc_u32 s45, s45, s49
	s_add_u32 s48, s46, -8
	v_add_co_u32_e32 v12, vcc, -16, v12
	s_addc_u32 s49, s47, -1
	v_addc_co_u32_e32 v13, vcc, -1, v13, vcc
	s_add_u32 s42, s42, s46
	s_addc_u32 s43, s43, s47
	v_add_co_u32_e32 v10, vcc, -16, v10
	s_cmpk_eq_i32 s40, 0x200
	v_addc_co_u32_e32 v11, vcc, -1, v11, vcc
	s_cbranch_scc1 .LBB4_112
; %bb.127:                              ;   in Loop: Header=BB4_116 Depth=3
	s_mov_b64 s[46:47], s[48:49]
	s_mov_b64 s[48:49], s[50:51]
	s_branch .LBB4_116
.LBB4_128:                              ;   in Loop: Header=BB4_97 Depth=1
	s_or_b64 exec, exec, s[34:35]
.LBB4_129:                              ;   in Loop: Header=BB4_97 Depth=1
	s_and_saveexec_b64 s[30:31], s[0:1]
	s_cbranch_execz .LBB4_96
; %bb.130:                              ;   in Loop: Header=BB4_97 Depth=1
	v_mad_u64_u32 v[4:5], s[0:1], s10, v18, 0
	v_mov_b32_e32 v8, s55
	v_mad_u64_u32 v[5:6], s[0:1], s11, v18, v[5:6]
	ds_read_b64 v[6:7], v14
	v_lshlrev_b64 v[4:5], 3, v[4:5]
	v_add_co_u32_e32 v4, vcc, s54, v4
	v_addc_co_u32_e32 v5, vcc, v8, v5, vcc
	s_waitcnt lgkmcnt(0)
	global_store_dwordx2 v[4:5], v[6:7], off
	s_branch .LBB4_96
.LBB4_131:
	s_mov_b64 s[0:1], 0
.LBB4_132:
	s_andn2_b64 vcc, exec, s[0:1]
	s_cbranch_vccnz .LBB4_166
; %bb.133:
	s_andn2_b64 vcc, exec, s[6:7]
	s_cbranch_vccnz .LBB4_166
; %bb.134:
	v_mov_b32_e32 v1, 0x2000
	v_mov_b32_e32 v3, 0
	s_add_i32 s26, s15, 0xfffffe00
	v_lshl_or_b32 v13, v0, 3, v1
	s_mov_b32 s24, 0
	s_mov_b32 s25, s15
	v_mov_b32_e32 v1, v3
	v_mov_b32_e32 v14, s14
	s_xor_b64 s[4:5], s[12:13], -1
	s_branch .LBB4_136
.LBB4_135:                              ;   in Loop: Header=BB4_136 Depth=1
	s_or_b64 exec, exec, s[6:7]
	s_add_u32 s25, s25, 0xfffffe00
	s_addc_u32 s24, s24, -1
	s_and_b64 vcc, exec, s[2:3]
	s_mov_b32 s26, s27
	s_waitcnt vmcnt(0)
	s_barrier
	s_cbranch_vccnz .LBB4_166
.LBB4_136:                              ; =>This Loop Header: Depth=1
                                        ;     Child Loop BB4_140 Depth 2
                                        ;     Child Loop BB4_152 Depth 2
                                        ;       Child Loop BB4_155 Depth 3
	v_add_u32_e32 v4, s26, v0
	v_cmp_gt_i32_e32 vcc, 0, v4
	v_cmp_lt_i32_e64 s[0:1], -1, v4
	v_mov_b32_e32 v5, v3
	s_and_saveexec_b64 s[6:7], s[0:1]
	s_cbranch_execz .LBB4_138
; %bb.137:                              ;   in Loop: Header=BB4_136 Depth=1
	v_mad_u64_u32 v[6:7], s[2:3], s10, v4, 0
	v_mov_b32_e32 v2, v7
	v_mad_u64_u32 v[7:8], s[2:3], s11, v4, v[2:3]
	v_mov_b32_e32 v2, s55
	v_lshlrev_b64 v[6:7], 3, v[6:7]
	v_add_co_u32_e64 v6, s[2:3], s54, v6
	v_addc_co_u32_e64 v7, s[2:3], v2, v7, s[2:3]
	global_load_dwordx2 v[6:7], v[6:7], off
	s_waitcnt vmcnt(0)
	ds_write_b64 v13, v[6:7]
.LBB4_138:                              ;   in Loop: Header=BB4_136 Depth=1
	s_or_b64 exec, exec, s[6:7]
	v_add_u32_e32 v2, 1, v4
	v_mad_u64_u32 v[8:9], s[2:3], v4, v2, 0
	v_lshlrev_b64 v[10:11], 3, v[4:5]
	v_ashrrev_i32_e32 v7, 31, v4
	v_mov_b32_e32 v6, v4
	v_add_co_u32_e64 v10, s[2:3], s33, v10
	v_lshlrev_b64 v[5:6], 3, v[6:7]
	v_addc_co_u32_e64 v11, s[2:3], v14, v11, s[2:3]
	v_lshlrev_b64 v[7:8], 2, v[8:9]
	v_add_co_u32_e64 v2, s[2:3], s33, v5
	v_addc_co_u32_e64 v15, s[2:3], v14, v6, s[2:3]
	v_and_b32_e32 v5, -8, v7
	v_add_co_u32_e64 v5, s[2:3], v10, v5
	v_addc_co_u32_e64 v6, s[2:3], v11, v8, s[2:3]
	s_or_b64 s[2:3], s[12:13], vcc
	s_movk_i32 s14, 0x1ff
	s_movk_i32 s15, 0x2ff8
	s_xor_b64 s[6:7], s[2:3], -1
	s_waitcnt lgkmcnt(0)
	s_barrier
	s_branch .LBB4_140
.LBB4_139:                              ;   in Loop: Header=BB4_140 Depth=2
	s_or_b64 exec, exec, s[2:3]
	s_add_i32 s14, s14, -1
	s_add_i32 s15, s15, -8
	s_cmp_eq_u32 s14, -1
	s_cbranch_scc1 .LBB4_148
.LBB4_140:                              ;   Parent Loop BB4_136 Depth=1
                                        ; =>  This Inner Loop Header: Depth=2
	v_cmp_eq_u32_e32 vcc, s14, v0
	s_and_b64 s[8:9], vcc, s[6:7]
	s_and_saveexec_b64 s[2:3], s[8:9]
	s_cbranch_execz .LBB4_146
; %bb.141:                              ;   in Loop: Header=BB4_140 Depth=2
	global_load_dwordx2 v[7:8], v[5:6], off
	ds_read_b64 v[9:10], v13
                                        ; implicit-def: $vgpr11
	s_waitcnt vmcnt(0)
	v_cmp_ngt_f32_e64 s[8:9], |v7|, |v8|
	s_and_saveexec_b64 s[16:17], s[8:9]
	s_xor_b64 s[8:9], exec, s[16:17]
	s_cbranch_execz .LBB4_143
; %bb.142:                              ;   in Loop: Header=BB4_140 Depth=2
	v_div_scale_f32 v11, s[16:17], v8, v8, v7
	v_div_scale_f32 v12, vcc, v7, v8, v7
	v_rcp_f32_e32 v16, v11
	v_fma_f32 v17, -v11, v16, 1.0
	v_fmac_f32_e32 v16, v17, v16
	v_mul_f32_e32 v17, v12, v16
	v_fma_f32 v18, -v11, v17, v12
	v_fmac_f32_e32 v17, v18, v16
	v_fma_f32 v11, -v11, v17, v12
	v_div_fmas_f32 v11, v11, v16, v17
	v_div_fixup_f32 v11, v11, v8, v7
	v_fmac_f32_e32 v8, v7, v11
	v_div_scale_f32 v7, s[16:17], v8, v8, 1.0
	v_div_scale_f32 v12, vcc, 1.0, v8, 1.0
	v_rcp_f32_e32 v16, v7
	v_fma_f32 v17, -v7, v16, 1.0
	v_fmac_f32_e32 v16, v17, v16
	v_mul_f32_e32 v17, v12, v16
	v_fma_f32 v18, -v7, v17, v12
	v_fmac_f32_e32 v17, v18, v16
	v_fma_f32 v7, -v7, v17, v12
	v_div_fmas_f32 v7, v7, v16, v17
	s_waitcnt lgkmcnt(0)
	v_fma_f32 v12, v11, v9, v10
	v_fma_f32 v9, v11, v10, -v9
	v_div_fixup_f32 v7, v7, v8, 1.0
	v_mul_f32_e32 v11, v7, v12
	v_mul_f32_e32 v12, v7, v9
                                        ; implicit-def: $vgpr7_vgpr8
                                        ; implicit-def: $vgpr9_vgpr10
.LBB4_143:                              ;   in Loop: Header=BB4_140 Depth=2
	s_andn2_saveexec_b64 s[8:9], s[8:9]
	s_cbranch_execz .LBB4_145
; %bb.144:                              ;   in Loop: Header=BB4_140 Depth=2
	v_div_scale_f32 v11, s[16:17], v7, v7, v8
	v_div_scale_f32 v12, vcc, v8, v7, v8
	v_rcp_f32_e32 v16, v11
	v_fma_f32 v17, -v11, v16, 1.0
	v_fmac_f32_e32 v16, v17, v16
	v_mul_f32_e32 v17, v12, v16
	v_fma_f32 v18, -v11, v17, v12
	v_fmac_f32_e32 v17, v18, v16
	v_fma_f32 v11, -v11, v17, v12
	v_div_fmas_f32 v11, v11, v16, v17
	v_div_fixup_f32 v11, v11, v7, v8
	v_fmac_f32_e32 v7, v8, v11
	v_div_scale_f32 v8, s[16:17], v7, v7, 1.0
	v_div_scale_f32 v12, vcc, 1.0, v7, 1.0
	v_rcp_f32_e32 v16, v8
	v_fma_f32 v17, -v8, v16, 1.0
	v_fmac_f32_e32 v16, v17, v16
	v_mul_f32_e32 v17, v12, v16
	v_fma_f32 v18, -v8, v17, v12
	v_fmac_f32_e32 v17, v18, v16
	v_fma_f32 v8, -v8, v17, v12
	v_div_fmas_f32 v8, v8, v16, v17
	s_waitcnt lgkmcnt(0)
	v_fma_f32 v12, v11, v10, v9
	v_fma_f32 v9, -v11, v9, v10
	v_div_fixup_f32 v7, v8, v7, 1.0
	v_mul_f32_e32 v11, v7, v12
	v_mul_f32_e32 v12, v7, v9
.LBB4_145:                              ;   in Loop: Header=BB4_140 Depth=2
	s_or_b64 exec, exec, s[8:9]
	ds_write_b64 v13, v[11:12]
.LBB4_146:                              ;   in Loop: Header=BB4_140 Depth=2
	s_or_b64 exec, exec, s[2:3]
	s_add_i32 s9, s25, s14
	s_add_i32 s8, s9, 0xfffffe00
	v_or_b32_e32 v7, s8, v4
	v_cmp_gt_u32_e32 vcc, s14, v0
	v_cmp_lt_i32_e64 s[2:3], -1, v7
	s_and_b64 s[16:17], vcc, s[2:3]
	s_waitcnt lgkmcnt(0)
	s_barrier
	s_and_saveexec_b64 s[2:3], s[16:17]
	s_cbranch_execz .LBB4_139
; %bb.147:                              ;   in Loop: Header=BB4_140 Depth=2
	s_add_i32 s16, s9, 0xfffffe01
	s_mul_hi_u32 s9, s16, s8
	s_mul_i32 s8, s16, s8
	s_lshl_b64 s[8:9], s[8:9], 2
	s_and_b32 s8, s8, -8
	v_mov_b32_e32 v8, s9
	v_add_co_u32_e32 v7, vcc, s8, v2
	v_addc_co_u32_e32 v8, vcc, v15, v8, vcc
	global_load_dwordx2 v[7:8], v[7:8], off
	v_mov_b32_e32 v9, s15
	ds_read_b64 v[9:10], v9
	ds_read_b64 v[11:12], v13
	s_waitcnt vmcnt(0) lgkmcnt(1)
	v_mul_f32_e32 v16, v10, v8
	v_mul_f32_e32 v8, v9, v8
	v_fma_f32 v9, v9, v7, -v16
	v_fmac_f32_e32 v8, v10, v7
	s_waitcnt lgkmcnt(0)
	v_sub_f32_e32 v7, v11, v9
	v_sub_f32_e32 v8, v12, v8
	ds_write_b64 v13, v[7:8]
	s_branch .LBB4_139
.LBB4_148:                              ;   in Loop: Header=BB4_136 Depth=1
	s_add_i32 s27, s26, 0xfffffe00
	s_cmp_lt_i32 s26, 1
	s_cselect_b64 s[2:3], -1, 0
	s_and_b64 vcc, exec, s[2:3]
	s_waitcnt lgkmcnt(0)
	s_barrier
	s_cbranch_vccnz .LBB4_164
; %bb.149:                              ;   in Loop: Header=BB4_136 Depth=1
	v_mov_b32_e32 v6, v1
	s_mov_b64 s[6:7], 0
	v_mov_b32_e32 v5, v0
	s_mov_b32 s28, s27
                                        ; implicit-def: $sgpr8_sgpr9
	s_branch .LBB4_152
.LBB4_150:                              ;   in Loop: Header=BB4_152 Depth=2
	v_mad_u64_u32 v[7:8], s[16:17], s10, v2, 0
	s_add_i32 s18, s28, 0xfffffe00
	s_cmp_lt_i32 s28, 1
	v_mad_u64_u32 v[8:9], s[16:17], s11, v2, v[8:9]
	v_mov_b32_e32 v2, s55
	s_cselect_b64 s[16:17], -1, 0
	v_lshlrev_b64 v[7:8], 3, v[7:8]
	s_andn2_b64 s[8:9], s[8:9], exec
	v_add_co_u32_e32 v7, vcc, s54, v7
	v_addc_co_u32_e32 v8, vcc, v2, v8, vcc
	global_load_dwordx2 v[9:10], v[7:8], off
	v_add_co_u32_e32 v5, vcc, 0xfffffe00, v5
	s_and_b64 s[16:17], s[16:17], exec
	v_addc_co_u32_e32 v6, vcc, -1, v6, vcc
	s_or_b64 s[8:9], s[8:9], s[16:17]
	s_mov_b32 s28, s18
	s_waitcnt vmcnt(0)
	v_sub_f32_e32 v9, v9, v16
	v_sub_f32_e32 v10, v10, v15
	global_store_dwordx2 v[7:8], v[9:10], off
.LBB4_151:                              ;   in Loop: Header=BB4_152 Depth=2
	s_or_b64 exec, exec, s[14:15]
	s_and_b64 s[14:15], exec, s[8:9]
	s_or_b64 s[6:7], s[14:15], s[6:7]
	s_andn2_b64 exec, exec, s[6:7]
	s_cbranch_execz .LBB4_163
.LBB4_152:                              ;   Parent Loop BB4_136 Depth=1
                                        ; =>  This Loop Header: Depth=2
                                        ;       Child Loop BB4_155 Depth 3
	v_add_u32_e32 v2, s28, v0
	v_cmp_lt_i32_e32 vcc, -1, v2
	s_or_b64 s[8:9], s[8:9], exec
	s_and_saveexec_b64 s[14:15], vcc
	s_cbranch_execz .LBB4_151
; %bb.153:                              ;   in Loop: Header=BB4_152 Depth=2
	v_lshlrev_b64 v[7:8], 3, v[2:3]
	v_mov_b32_e32 v15, 0
	v_add_co_u32_e32 v17, vcc, s33, v7
	v_addc_co_u32_e32 v18, vcc, v14, v8, vcc
	v_add_co_u32_e32 v19, vcc, 0xfffffdff, v5
	v_add_co_u32_e32 v20, vcc, 0xfffffe00, v5
	s_movk_i32 s29, 0x2000
	s_mov_b64 s[16:17], 0
	v_mov_b32_e32 v16, 0
	s_branch .LBB4_155
.LBB4_154:                              ;   in Loop: Header=BB4_155 Depth=3
	s_or_b64 exec, exec, s[18:19]
	s_add_i32 s29, s29, 16
	s_add_u32 s16, s16, 2
	s_waitcnt lgkmcnt(0)
	v_add_f32_e32 v8, v15, v8
	v_add_f32_e32 v7, v16, v7
	s_addc_u32 s17, s17, 0
	v_add_f32_e32 v15, v8, v10
	s_cmpk_eq_i32 s16, 0x200
	v_add_f32_e32 v16, v7, v9
	s_cbranch_scc1 .LBB4_150
.LBB4_155:                              ;   Parent Loop BB4_136 Depth=1
                                        ;     Parent Loop BB4_152 Depth=2
                                        ; =>    This Inner Loop Header: Depth=3
	v_cmp_ne_u32_e32 vcc, s16, v20
	s_or_b64 s[22:23], s[4:5], vcc
                                        ; implicit-def: $vgpr8
                                        ; implicit-def: $sgpr18_sgpr19
                                        ; implicit-def: $sgpr20_sgpr21
	s_and_saveexec_b64 s[30:31], s[22:23]
	s_xor_b64 s[22:23], exec, s[30:31]
	s_cbranch_execz .LBB4_157
; %bb.156:                              ;   in Loop: Header=BB4_155 Depth=3
	s_add_u32 s18, s25, s16
	s_addc_u32 s19, s24, s17
	s_add_u32 s20, s18, 0xfffffe01
	s_addc_u32 s21, s19, 0
	;; [unrolled: 2-line block ×3, first 2 shown]
	s_mul_i32 s31, s20, s31
	s_mul_hi_u32 s34, s20, s30
	s_add_i32 s31, s34, s31
	s_mul_i32 s30, s20, s30
	s_lshl_b64 s[30:31], s[30:31], 2
	s_and_b32 s30, s30, -8
	v_mov_b32_e32 v8, s31
	v_add_co_u32_e32 v7, vcc, s30, v17
	v_addc_co_u32_e32 v8, vcc, v18, v8, vcc
	global_load_dwordx2 v[9:10], v[7:8], off
	v_mov_b32_e32 v7, s29
	ds_read_b64 v[11:12], v7
	s_waitcnt vmcnt(0) lgkmcnt(0)
	v_mul_f32_e32 v7, v12, v10
	v_mul_f32_e32 v8, v11, v10
	v_fma_f32 v7, v11, v9, -v7
	v_fmac_f32_e32 v8, v12, v9
.LBB4_157:                              ;   in Loop: Header=BB4_155 Depth=3
	s_or_saveexec_b64 s[22:23], s[22:23]
	v_mov_b32_e32 v9, s20
	v_mov_b32_e32 v11, s18
	;; [unrolled: 1-line block ×4, first 2 shown]
	s_xor_b64 exec, exec, s[22:23]
	s_cbranch_execz .LBB4_159
; %bb.158:                              ;   in Loop: Header=BB4_155 Depth=3
	v_mov_b32_e32 v7, s29
	ds_read_b64 v[7:8], v7
	s_add_u32 s18, s25, s16
	s_addc_u32 s19, s24, s17
	s_add_u32 s20, s18, 0xfffffe01
	s_addc_u32 s21, s19, 0
	v_mov_b32_e32 v9, s20
	v_mov_b32_e32 v11, s18
	;; [unrolled: 1-line block ×4, first 2 shown]
.LBB4_159:                              ;   in Loop: Header=BB4_155 Depth=3
	s_or_b64 exec, exec, s[22:23]
	v_cmp_ne_u32_e32 vcc, s16, v19
	s_or_b64 s[18:19], s[4:5], vcc
                                        ; implicit-def: $vgpr10
	s_and_saveexec_b64 s[20:21], s[18:19]
	s_xor_b64 s[18:19], exec, s[20:21]
	s_cbranch_execz .LBB4_161
; %bb.160:                              ;   in Loop: Header=BB4_155 Depth=3
	v_add_u32_e32 v10, 0xfffffe02, v11
	v_mad_u64_u32 v[9:10], s[20:21], v10, v9, 0
	v_lshlrev_b64 v[9:10], 2, v[9:10]
	v_and_b32_e32 v9, -8, v9
	v_add_co_u32_e32 v9, vcc, v17, v9
	v_addc_co_u32_e32 v10, vcc, v18, v10, vcc
	global_load_dwordx2 v[11:12], v[9:10], off
	v_mov_b32_e32 v9, s29
	ds_read_b64 v[21:22], v9 offset:8
	s_waitcnt vmcnt(0) lgkmcnt(0)
	v_mul_f32_e32 v9, v22, v12
	v_mul_f32_e32 v10, v21, v12
	v_fma_f32 v9, v21, v11, -v9
	v_fmac_f32_e32 v10, v22, v11
.LBB4_161:                              ;   in Loop: Header=BB4_155 Depth=3
	s_andn2_saveexec_b64 s[18:19], s[18:19]
	s_cbranch_execz .LBB4_154
; %bb.162:                              ;   in Loop: Header=BB4_155 Depth=3
	v_mov_b32_e32 v9, s29
	ds_read_b64 v[9:10], v9 offset:8
	s_branch .LBB4_154
.LBB4_163:                              ;   in Loop: Header=BB4_136 Depth=1
	s_or_b64 exec, exec, s[6:7]
.LBB4_164:                              ;   in Loop: Header=BB4_136 Depth=1
	s_and_saveexec_b64 s[6:7], s[0:1]
	s_cbranch_execz .LBB4_135
; %bb.165:                              ;   in Loop: Header=BB4_136 Depth=1
	v_mad_u64_u32 v[5:6], s[0:1], s10, v4, 0
	v_mov_b32_e32 v2, v6
	v_mad_u64_u32 v[6:7], s[0:1], s11, v4, v[2:3]
	ds_read_b64 v[7:8], v13
	v_mov_b32_e32 v2, s55
	v_lshlrev_b64 v[4:5], 3, v[5:6]
	v_add_co_u32_e32 v4, vcc, s54, v4
	v_addc_co_u32_e32 v5, vcc, v2, v5, vcc
	s_waitcnt lgkmcnt(0)
	global_store_dwordx2 v[4:5], v[7:8], off
	s_branch .LBB4_135
.LBB4_166:
	s_endpgm
	.section	.rodata,"a",@progbits
	.p2align	6, 0x0
	.amdhsa_kernel _ZL19rocblas_tpsv_kernelILb1ELi512EPK19rocblas_complex_numIfEPS1_Ev18rocblas_operation_bbiT1_llT2_lll
		.amdhsa_group_segment_fixed_size 16384
		.amdhsa_private_segment_fixed_size 0
		.amdhsa_kernarg_size 72
		.amdhsa_user_sgpr_count 6
		.amdhsa_user_sgpr_private_segment_buffer 1
		.amdhsa_user_sgpr_dispatch_ptr 0
		.amdhsa_user_sgpr_queue_ptr 0
		.amdhsa_user_sgpr_kernarg_segment_ptr 1
		.amdhsa_user_sgpr_dispatch_id 0
		.amdhsa_user_sgpr_flat_scratch_init 0
		.amdhsa_user_sgpr_private_segment_size 0
		.amdhsa_uses_dynamic_stack 0
		.amdhsa_system_sgpr_private_segment_wavefront_offset 0
		.amdhsa_system_sgpr_workgroup_id_x 1
		.amdhsa_system_sgpr_workgroup_id_y 0
		.amdhsa_system_sgpr_workgroup_id_z 0
		.amdhsa_system_sgpr_workgroup_info 0
		.amdhsa_system_vgpr_workitem_id 0
		.amdhsa_next_free_vgpr 32
		.amdhsa_next_free_sgpr 64
		.amdhsa_reserve_vcc 1
		.amdhsa_reserve_flat_scratch 0
		.amdhsa_float_round_mode_32 0
		.amdhsa_float_round_mode_16_64 0
		.amdhsa_float_denorm_mode_32 3
		.amdhsa_float_denorm_mode_16_64 3
		.amdhsa_dx10_clamp 1
		.amdhsa_ieee_mode 1
		.amdhsa_fp16_overflow 0
		.amdhsa_exception_fp_ieee_invalid_op 0
		.amdhsa_exception_fp_denorm_src 0
		.amdhsa_exception_fp_ieee_div_zero 0
		.amdhsa_exception_fp_ieee_overflow 0
		.amdhsa_exception_fp_ieee_underflow 0
		.amdhsa_exception_fp_ieee_inexact 0
		.amdhsa_exception_int_div_zero 0
	.end_amdhsa_kernel
	.section	.text._ZL19rocblas_tpsv_kernelILb1ELi512EPK19rocblas_complex_numIfEPS1_Ev18rocblas_operation_bbiT1_llT2_lll,"axG",@progbits,_ZL19rocblas_tpsv_kernelILb1ELi512EPK19rocblas_complex_numIfEPS1_Ev18rocblas_operation_bbiT1_llT2_lll,comdat
.Lfunc_end4:
	.size	_ZL19rocblas_tpsv_kernelILb1ELi512EPK19rocblas_complex_numIfEPS1_Ev18rocblas_operation_bbiT1_llT2_lll, .Lfunc_end4-_ZL19rocblas_tpsv_kernelILb1ELi512EPK19rocblas_complex_numIfEPS1_Ev18rocblas_operation_bbiT1_llT2_lll
                                        ; -- End function
	.set _ZL19rocblas_tpsv_kernelILb1ELi512EPK19rocblas_complex_numIfEPS1_Ev18rocblas_operation_bbiT1_llT2_lll.num_vgpr, 32
	.set _ZL19rocblas_tpsv_kernelILb1ELi512EPK19rocblas_complex_numIfEPS1_Ev18rocblas_operation_bbiT1_llT2_lll.num_agpr, 0
	.set _ZL19rocblas_tpsv_kernelILb1ELi512EPK19rocblas_complex_numIfEPS1_Ev18rocblas_operation_bbiT1_llT2_lll.numbered_sgpr, 64
	.set _ZL19rocblas_tpsv_kernelILb1ELi512EPK19rocblas_complex_numIfEPS1_Ev18rocblas_operation_bbiT1_llT2_lll.num_named_barrier, 0
	.set _ZL19rocblas_tpsv_kernelILb1ELi512EPK19rocblas_complex_numIfEPS1_Ev18rocblas_operation_bbiT1_llT2_lll.private_seg_size, 0
	.set _ZL19rocblas_tpsv_kernelILb1ELi512EPK19rocblas_complex_numIfEPS1_Ev18rocblas_operation_bbiT1_llT2_lll.uses_vcc, 1
	.set _ZL19rocblas_tpsv_kernelILb1ELi512EPK19rocblas_complex_numIfEPS1_Ev18rocblas_operation_bbiT1_llT2_lll.uses_flat_scratch, 0
	.set _ZL19rocblas_tpsv_kernelILb1ELi512EPK19rocblas_complex_numIfEPS1_Ev18rocblas_operation_bbiT1_llT2_lll.has_dyn_sized_stack, 0
	.set _ZL19rocblas_tpsv_kernelILb1ELi512EPK19rocblas_complex_numIfEPS1_Ev18rocblas_operation_bbiT1_llT2_lll.has_recursion, 0
	.set _ZL19rocblas_tpsv_kernelILb1ELi512EPK19rocblas_complex_numIfEPS1_Ev18rocblas_operation_bbiT1_llT2_lll.has_indirect_call, 0
	.section	.AMDGPU.csdata,"",@progbits
; Kernel info:
; codeLenInByte = 7548
; TotalNumSgprs: 68
; NumVgprs: 32
; ScratchSize: 0
; MemoryBound: 0
; FloatMode: 240
; IeeeMode: 1
; LDSByteSize: 16384 bytes/workgroup (compile time only)
; SGPRBlocks: 8
; VGPRBlocks: 7
; NumSGPRsForWavesPerEU: 68
; NumVGPRsForWavesPerEU: 32
; Occupancy: 8
; WaveLimiterHint : 0
; COMPUTE_PGM_RSRC2:SCRATCH_EN: 0
; COMPUTE_PGM_RSRC2:USER_SGPR: 6
; COMPUTE_PGM_RSRC2:TRAP_HANDLER: 0
; COMPUTE_PGM_RSRC2:TGID_X_EN: 1
; COMPUTE_PGM_RSRC2:TGID_Y_EN: 0
; COMPUTE_PGM_RSRC2:TGID_Z_EN: 0
; COMPUTE_PGM_RSRC2:TIDIG_COMP_CNT: 0
	.section	.text._ZL19rocblas_tpsv_kernelILb0ELi512EPK19rocblas_complex_numIfEPS1_Ev18rocblas_operation_bbiT1_llT2_lll,"axG",@progbits,_ZL19rocblas_tpsv_kernelILb0ELi512EPK19rocblas_complex_numIfEPS1_Ev18rocblas_operation_bbiT1_llT2_lll,comdat
	.globl	_ZL19rocblas_tpsv_kernelILb0ELi512EPK19rocblas_complex_numIfEPS1_Ev18rocblas_operation_bbiT1_llT2_lll ; -- Begin function _ZL19rocblas_tpsv_kernelILb0ELi512EPK19rocblas_complex_numIfEPS1_Ev18rocblas_operation_bbiT1_llT2_lll
	.p2align	8
	.type	_ZL19rocblas_tpsv_kernelILb0ELi512EPK19rocblas_complex_numIfEPS1_Ev18rocblas_operation_bbiT1_llT2_lll,@function
_ZL19rocblas_tpsv_kernelILb0ELi512EPK19rocblas_complex_numIfEPS1_Ev18rocblas_operation_bbiT1_llT2_lll: ; @_ZL19rocblas_tpsv_kernelILb0ELi512EPK19rocblas_complex_numIfEPS1_Ev18rocblas_operation_bbiT1_llT2_lll
; %bb.0:
	s_load_dwordx2 s[26:27], s[4:5], 0x0
	s_load_dwordx2 s[16:17], s[4:5], 0x4
	;; [unrolled: 1-line block ×3, first 2 shown]
	s_load_dwordx4 s[0:3], s[4:5], 0x18
	s_load_dwordx2 s[28:29], s[4:5], 0x28
	s_waitcnt lgkmcnt(0)
	s_bitcmp1_b32 s27, 0
	s_cselect_b64 s[8:9], -1, 0
	s_xor_b64 s[22:23], s[8:9], -1
	s_bitcmp1_b32 s16, 8
	s_load_dwordx4 s[8:11], s[4:5], 0x30
	s_load_dwordx2 s[30:31], s[4:5], 0x40
	s_mul_i32 s3, s3, s6
	s_mul_hi_u32 s4, s2, s6
	s_cselect_b64 s[12:13], -1, 0
	s_add_i32 s3, s4, s3
	s_mul_i32 s2, s2, s6
	s_lshl_b64 s[20:21], s[2:3], 3
	s_add_u32 s2, s18, s20
	s_addc_u32 s3, s19, s21
	s_lshl_b64 s[24:25], s[0:1], 3
	s_add_u32 s14, s2, s24
	s_waitcnt lgkmcnt(0)
	s_mul_i32 s0, s31, s6
	s_mul_hi_u32 s1, s30, s6
	s_addc_u32 s15, s3, s25
	s_add_i32 s1, s1, s0
	s_mul_i32 s0, s30, s6
	s_lshl_b64 s[0:1], s[0:1], 3
	s_add_u32 s2, s28, s0
	s_addc_u32 s3, s29, s1
	s_lshl_b64 s[0:1], s[8:9], 3
	s_add_u32 s33, s2, s0
	s_addc_u32 s56, s3, s1
	s_cmp_gt_i32 s17, 0
	s_cselect_b64 s[6:7], -1, 0
	s_cmpk_lg_i32 s26, 0x6f
	s_mov_b64 s[0:1], -1
	s_cbranch_scc0 .LBB5_92
; %bb.1:
	s_and_b64 vcc, exec, s[22:23]
	s_cbranch_vccz .LBB5_44
; %bb.2:
	s_andn2_b64 vcc, exec, s[6:7]
	s_cbranch_vccnz .LBB5_43
; %bb.3:
	s_lshl_b32 s2, s17, 1
	s_add_i32 s34, s17, 0xfffffe00
	s_or_b32 s16, s2, 1
	s_add_u32 s3, s20, s24
	s_addc_u32 s4, s21, s25
	s_ashr_i32 s1, s17, 31
	s_mov_b32 s0, s17
	s_lshl_b64 s[0:1], s[0:1], 3
	s_add_u32 s0, s3, s0
	s_addc_u32 s1, s4, s1
	s_add_u32 s0, s18, s0
	v_mov_b32_e32 v1, 0x1000
	s_addc_u32 s1, s19, s1
	v_lshl_or_b32 v15, v0, 3, v1
	s_add_u32 s4, s0, 0xfffff000
	v_add_u32_e32 v1, s17, v0
	v_sub_u32_e32 v16, 0, v0
	s_addc_u32 s5, s1, -1
	v_add_u32_e32 v17, 0xfffffc00, v1
	s_ashr_i32 s36, s2, 31
	v_mov_b32_e32 v2, 0
	v_mov_b32_e32 v18, s15
	s_movk_i32 s37, 0x400
	s_movk_i32 s38, 0x401
	;; [unrolled: 1-line block ×4, first 2 shown]
	s_xor_b64 s[8:9], s[12:13], -1
	s_movk_i32 s41, 0x1000
	s_branch .LBB5_5
.LBB5_4:                                ;   in Loop: Header=BB5_5 Depth=1
	s_or_b64 exec, exec, s[26:27]
	s_add_u32 s4, s4, 0xfffff000
	s_addc_u32 s5, s5, -1
	v_add_u32_e32 v17, 0xfffffe00, v17
	s_andn2_b64 vcc, exec, s[2:3]
	s_mov_b32 s34, s42
	s_waitcnt vmcnt(0)
	s_barrier
	s_cbranch_vccz .LBB5_43
.LBB5_5:                                ; =>This Loop Header: Depth=1
                                        ;     Child Loop BB5_9 Depth 2
                                        ;     Child Loop BB5_21 Depth 2
                                        ;       Child Loop BB5_24 Depth 3
	v_add_u32_e32 v19, s34, v0
	v_cmp_gt_i32_e64 s[2:3], 0, v19
	v_cmp_lt_i32_e64 s[0:1], -1, v19
	s_and_saveexec_b64 s[26:27], s[0:1]
	s_cbranch_execz .LBB5_7
; %bb.6:                                ;   in Loop: Header=BB5_5 Depth=1
	v_mad_u64_u32 v[3:4], s[28:29], s10, v19, 0
	v_mov_b32_e32 v1, v4
	v_mad_u64_u32 v[4:5], s[28:29], s11, v19, v[1:2]
	v_mov_b32_e32 v1, s56
	v_lshlrev_b64 v[3:4], 3, v[3:4]
	v_add_co_u32_e32 v3, vcc, s33, v3
	v_addc_co_u32_e32 v4, vcc, v1, v4, vcc
	global_load_dwordx2 v[3:4], v[3:4], off
	s_waitcnt vmcnt(0)
	ds_write_b64 v15, v[3:4]
.LBB5_7:                                ;   in Loop: Header=BB5_5 Depth=1
	s_or_b64 exec, exec, s[26:27]
	v_sub_u32_e32 v1, s16, v19
	v_mad_u64_u32 v[3:4], s[26:27], v19, v1, 0
	v_ashrrev_i32_e32 v5, 31, v1
	s_not_b32 s35, s34
	v_mov_b32_e32 v1, v4
	v_mad_u64_u32 v[4:5], s[26:27], v19, v5, v[1:2]
	s_or_b64 s[26:27], s[12:13], s[2:3]
	s_movk_i32 s42, 0x1ff
	v_lshlrev_b64 v[3:4], 2, v[3:4]
	s_movk_i32 s43, 0x1ff8
	v_and_b32_e32 v1, -8, v3
	v_add_co_u32_e32 v3, vcc, s14, v1
	v_addc_co_u32_e32 v4, vcc, v18, v4, vcc
	s_xor_b64 s[26:27], s[26:27], -1
	s_waitcnt lgkmcnt(0)
	s_barrier
	s_branch .LBB5_9
.LBB5_8:                                ;   in Loop: Header=BB5_9 Depth=2
	s_or_b64 exec, exec, s[28:29]
	s_add_i32 s42, s42, -1
	s_add_i32 s43, s43, -8
	s_cmp_eq_u32 s42, -1
	s_cbranch_scc1 .LBB5_17
.LBB5_9:                                ;   Parent Loop BB5_5 Depth=1
                                        ; =>  This Inner Loop Header: Depth=2
	v_add_u32_e32 v1, s42, v16
	v_cmp_eq_u32_e32 vcc, 0, v1
	s_and_b64 s[30:31], vcc, s[26:27]
	s_and_saveexec_b64 s[28:29], s[30:31]
	s_cbranch_execz .LBB5_15
; %bb.10:                               ;   in Loop: Header=BB5_9 Depth=2
	global_load_dwordx2 v[5:6], v[3:4], off
	ds_read_b64 v[7:8], v15
                                        ; implicit-def: $vgpr9
	s_waitcnt vmcnt(0)
	v_cmp_ngt_f32_e64 s[30:31], |v5|, |v6|
	s_and_saveexec_b64 s[44:45], s[30:31]
	s_xor_b64 s[30:31], exec, s[44:45]
	s_cbranch_execz .LBB5_12
; %bb.11:                               ;   in Loop: Header=BB5_9 Depth=2
	v_div_scale_f32 v9, s[44:45], v6, v6, v5
	v_div_scale_f32 v10, vcc, v5, v6, v5
	v_rcp_f32_e32 v11, v9
	v_fma_f32 v12, -v9, v11, 1.0
	v_fmac_f32_e32 v11, v12, v11
	v_mul_f32_e32 v12, v10, v11
	v_fma_f32 v13, -v9, v12, v10
	v_fmac_f32_e32 v12, v13, v11
	v_fma_f32 v9, -v9, v12, v10
	v_div_fmas_f32 v9, v9, v11, v12
	v_div_fixup_f32 v9, v9, v6, v5
	v_fmac_f32_e32 v6, v5, v9
	v_div_scale_f32 v5, s[44:45], v6, v6, 1.0
	v_div_scale_f32 v10, vcc, 1.0, v6, 1.0
	v_rcp_f32_e32 v11, v5
	v_fma_f32 v12, -v5, v11, 1.0
	v_fmac_f32_e32 v11, v12, v11
	v_mul_f32_e32 v12, v10, v11
	v_fma_f32 v13, -v5, v12, v10
	v_fmac_f32_e32 v12, v13, v11
	v_fma_f32 v5, -v5, v12, v10
	v_div_fmas_f32 v5, v5, v11, v12
	s_waitcnt lgkmcnt(0)
	v_fma_f32 v10, v9, v7, v8
	v_fma_f32 v7, v9, v8, -v7
	v_div_fixup_f32 v5, v5, v6, 1.0
	v_mul_f32_e32 v9, v5, v10
	v_mul_f32_e32 v10, v5, v7
                                        ; implicit-def: $vgpr5_vgpr6
                                        ; implicit-def: $vgpr7_vgpr8
.LBB5_12:                               ;   in Loop: Header=BB5_9 Depth=2
	s_andn2_saveexec_b64 s[30:31], s[30:31]
	s_cbranch_execz .LBB5_14
; %bb.13:                               ;   in Loop: Header=BB5_9 Depth=2
	v_div_scale_f32 v9, s[44:45], v5, v5, v6
	v_div_scale_f32 v10, vcc, v6, v5, v6
	v_rcp_f32_e32 v11, v9
	v_fma_f32 v12, -v9, v11, 1.0
	v_fmac_f32_e32 v11, v12, v11
	v_mul_f32_e32 v12, v10, v11
	v_fma_f32 v13, -v9, v12, v10
	v_fmac_f32_e32 v12, v13, v11
	v_fma_f32 v9, -v9, v12, v10
	v_div_fmas_f32 v9, v9, v11, v12
	v_div_fixup_f32 v9, v9, v5, v6
	v_fmac_f32_e32 v5, v6, v9
	v_div_scale_f32 v6, s[44:45], v5, v5, 1.0
	v_div_scale_f32 v10, vcc, 1.0, v5, 1.0
	v_rcp_f32_e32 v11, v6
	v_fma_f32 v12, -v6, v11, 1.0
	v_fmac_f32_e32 v11, v12, v11
	v_mul_f32_e32 v12, v10, v11
	v_fma_f32 v13, -v6, v12, v10
	v_fmac_f32_e32 v12, v13, v11
	v_fma_f32 v6, -v6, v12, v10
	v_div_fmas_f32 v6, v6, v11, v12
	s_waitcnt lgkmcnt(0)
	v_fma_f32 v10, v9, v8, v7
	v_fma_f32 v7, -v9, v7, v8
	v_div_fixup_f32 v5, v6, v5, 1.0
	v_mul_f32_e32 v9, v5, v10
	v_mul_f32_e32 v10, v5, v7
.LBB5_14:                               ;   in Loop: Header=BB5_9 Depth=2
	s_or_b64 exec, exec, s[30:31]
	ds_write_b64 v15, v[9:10]
.LBB5_15:                               ;   in Loop: Header=BB5_9 Depth=2
	s_or_b64 exec, exec, s[28:29]
	s_cmp_le_i32 s42, s35
	v_cmp_le_u32_e32 vcc, s42, v0
	s_cselect_b64 s[28:29], -1, 0
	s_or_b64 s[28:29], vcc, s[28:29]
	s_nor_b64 s[30:31], s[2:3], s[28:29]
	s_waitcnt lgkmcnt(0)
	s_barrier
	s_and_saveexec_b64 s[28:29], s[30:31]
	s_cbranch_execz .LBB5_8
; %bb.16:                               ;   in Loop: Header=BB5_9 Depth=2
	v_lshlrev_b64 v[5:6], 3, v[1:2]
	v_mov_b32_e32 v1, s43
	v_add_co_u32_e32 v5, vcc, v3, v5
	v_addc_co_u32_e32 v6, vcc, v4, v6, vcc
	global_load_dwordx2 v[5:6], v[5:6], off
	ds_read_b64 v[7:8], v1
	ds_read_b64 v[9:10], v15
	s_waitcnt vmcnt(0) lgkmcnt(1)
	v_mul_f32_e32 v1, v8, v6
	v_mul_f32_e32 v6, v7, v6
	v_fma_f32 v1, v7, v5, -v1
	v_fmac_f32_e32 v6, v8, v5
	s_waitcnt lgkmcnt(0)
	v_sub_f32_e32 v5, v9, v1
	v_sub_f32_e32 v6, v10, v6
	ds_write_b64 v15, v[5:6]
	s_branch .LBB5_8
.LBB5_17:                               ;   in Loop: Header=BB5_5 Depth=1
	s_add_i32 s42, s34, 0xfffffe00
	s_cmp_lt_i32 s34, 1
	s_cselect_b64 s[2:3], -1, 0
	s_and_b64 vcc, exec, s[2:3]
	s_waitcnt lgkmcnt(0)
	s_barrier
	s_cbranch_vccnz .LBB5_41
; %bb.18:                               ;   in Loop: Header=BB5_5 Depth=1
	v_mad_i64_i32 v[3:4], s[26:27], v17, -8, s[4:5]
	v_ashrrev_i32_e32 v5, 31, v17
	v_mov_b32_e32 v6, s36
	v_sub_co_u32_e32 v1, vcc, s16, v17
	v_subb_co_u32_e32 v20, vcc, v6, v5, vcc
	s_mov_b64 s[26:27], 0
	v_mov_b32_e32 v21, v17
	v_mov_b32_e32 v22, v0
	s_mov_b32 s43, s42
                                        ; implicit-def: $sgpr28_sgpr29
	s_branch .LBB5_21
.LBB5_19:                               ;   in Loop: Header=BB5_21 Depth=2
	v_mad_u64_u32 v[5:6], s[34:35], s10, v24, 0
	s_add_i32 s44, s43, 0xfffffe00
	s_cmp_lt_i32 s43, 1
	v_mad_u64_u32 v[6:7], s[34:35], s11, v24, v[6:7]
	v_mov_b32_e32 v7, s56
	s_cselect_b64 s[34:35], -1, 0
	v_lshlrev_b64 v[5:6], 3, v[5:6]
	s_andn2_b64 s[28:29], s[28:29], exec
	v_add_co_u32_e32 v5, vcc, s33, v5
	v_addc_co_u32_e32 v6, vcc, v7, v6, vcc
	global_load_dwordx2 v[7:8], v[5:6], off
	v_add_co_u32_e32 v3, vcc, s41, v3
	v_addc_co_u32_e32 v4, vcc, 0, v4, vcc
	v_add_co_u32_e32 v1, vcc, 0x200, v1
	s_and_b64 s[34:35], s[34:35], exec
	v_add_u32_e32 v22, 0xfffffe00, v22
	v_add_u32_e32 v21, 0xfffffe00, v21
	v_addc_co_u32_e32 v20, vcc, 0, v20, vcc
	s_or_b64 s[28:29], s[28:29], s[34:35]
	s_mov_b32 s43, s44
	s_waitcnt vmcnt(0)
	v_sub_f32_e32 v7, v7, v25
	v_sub_f32_e32 v8, v8, v23
	global_store_dwordx2 v[5:6], v[7:8], off
.LBB5_20:                               ;   in Loop: Header=BB5_21 Depth=2
	s_or_b64 exec, exec, s[30:31]
	s_and_b64 s[30:31], exec, s[28:29]
	s_or_b64 s[26:27], s[30:31], s[26:27]
	s_andn2_b64 exec, exec, s[26:27]
	s_cbranch_execz .LBB5_40
.LBB5_21:                               ;   Parent Loop BB5_5 Depth=1
                                        ; =>  This Loop Header: Depth=2
                                        ;       Child Loop BB5_24 Depth 3
	v_add_u32_e32 v24, s43, v0
	v_cmp_lt_i32_e32 vcc, -1, v24
	s_or_b64 s[28:29], s[28:29], exec
	s_and_saveexec_b64 s[30:31], vcc
	s_cbranch_execz .LBB5_20
; %bb.22:                               ;   in Loop: Header=BB5_21 Depth=2
	v_mad_u64_u32 v[5:6], s[34:35], v1, v21, 0
	v_mov_b32_e32 v23, 0
	s_movk_i32 s44, 0x1000
	v_mad_u64_u32 v[6:7], s[34:35], v20, v21, v[6:7]
	s_movk_i32 s45, 0x200
	v_mov_b32_e32 v25, 0
	v_lshlrev_b64 v[5:6], 2, v[5:6]
	v_and_b32_e32 v5, -8, v5
	v_add_co_u32_e32 v5, vcc, v3, v5
	v_addc_co_u32_e32 v6, vcc, v4, v6, vcc
	s_branch .LBB5_24
.LBB5_23:                               ;   in Loop: Header=BB5_24 Depth=3
	s_or_b64 exec, exec, s[34:35]
	s_waitcnt lgkmcnt(0)
	v_add_f32_e32 v8, v23, v8
	v_add_f32_e32 v7, v25, v7
	;; [unrolled: 1-line block ×6, first 2 shown]
	s_add_i32 s44, s44, 32
	s_add_i32 s45, s45, -4
	v_add_co_u32_e32 v5, vcc, 32, v5
	v_add_f32_e32 v23, v8, v14
	v_add_f32_e32 v25, v7, v13
	s_cmp_eq_u32 s45, 0
	v_addc_co_u32_e32 v6, vcc, 0, v6, vcc
	s_cbranch_scc1 .LBB5_19
.LBB5_24:                               ;   Parent Loop BB5_5 Depth=1
                                        ;     Parent Loop BB5_21 Depth=2
                                        ; =>    This Inner Loop Header: Depth=3
	v_add_u32_e32 v13, s45, v22
	v_cmp_ne_u32_e32 vcc, s37, v13
	s_or_b64 s[34:35], s[8:9], vcc
                                        ; implicit-def: $vgpr8
	s_and_saveexec_b64 s[46:47], s[34:35]
	s_xor_b64 s[34:35], exec, s[46:47]
	s_cbranch_execz .LBB5_26
; %bb.25:                               ;   in Loop: Header=BB5_24 Depth=3
	global_load_dwordx2 v[9:10], v[5:6], off
	v_mov_b32_e32 v7, s44
	ds_read_b64 v[11:12], v7
	s_waitcnt vmcnt(0) lgkmcnt(0)
	v_mul_f32_e32 v7, v12, v10
	v_mul_f32_e32 v8, v11, v10
	v_fma_f32 v7, v11, v9, -v7
	v_fmac_f32_e32 v8, v12, v9
.LBB5_26:                               ;   in Loop: Header=BB5_24 Depth=3
	s_andn2_saveexec_b64 s[34:35], s[34:35]
; %bb.27:                               ;   in Loop: Header=BB5_24 Depth=3
	v_mov_b32_e32 v7, s44
	ds_read_b64 v[7:8], v7
; %bb.28:                               ;   in Loop: Header=BB5_24 Depth=3
	s_or_b64 exec, exec, s[34:35]
	v_cmp_ne_u32_e32 vcc, s38, v13
	s_or_b64 s[34:35], s[8:9], vcc
                                        ; implicit-def: $vgpr10
	s_and_saveexec_b64 s[46:47], s[34:35]
	s_xor_b64 s[34:35], exec, s[46:47]
	s_cbranch_execz .LBB5_30
; %bb.29:                               ;   in Loop: Header=BB5_24 Depth=3
	global_load_dwordx2 v[11:12], v[5:6], off offset:8
	v_mov_b32_e32 v9, s44
	ds_read_b64 v[26:27], v9 offset:8
	s_waitcnt vmcnt(0) lgkmcnt(0)
	v_mul_f32_e32 v9, v27, v12
	v_mul_f32_e32 v10, v26, v12
	v_fma_f32 v9, v26, v11, -v9
	v_fmac_f32_e32 v10, v27, v11
.LBB5_30:                               ;   in Loop: Header=BB5_24 Depth=3
	s_andn2_saveexec_b64 s[34:35], s[34:35]
; %bb.31:                               ;   in Loop: Header=BB5_24 Depth=3
	v_mov_b32_e32 v9, s44
	ds_read_b64 v[9:10], v9 offset:8
; %bb.32:                               ;   in Loop: Header=BB5_24 Depth=3
	s_or_b64 exec, exec, s[34:35]
	v_cmp_ne_u32_e32 vcc, s39, v13
	s_or_b64 s[34:35], s[8:9], vcc
                                        ; implicit-def: $vgpr12
	s_and_saveexec_b64 s[46:47], s[34:35]
	s_xor_b64 s[34:35], exec, s[46:47]
	s_cbranch_execz .LBB5_34
; %bb.33:                               ;   in Loop: Header=BB5_24 Depth=3
	global_load_dwordx2 v[26:27], v[5:6], off offset:16
	v_mov_b32_e32 v11, s44
	ds_read_b64 v[28:29], v11 offset:16
	s_waitcnt vmcnt(0) lgkmcnt(0)
	v_mul_f32_e32 v11, v29, v27
	v_mul_f32_e32 v12, v28, v27
	v_fma_f32 v11, v28, v26, -v11
	v_fmac_f32_e32 v12, v29, v26
.LBB5_34:                               ;   in Loop: Header=BB5_24 Depth=3
	s_andn2_saveexec_b64 s[34:35], s[34:35]
; %bb.35:                               ;   in Loop: Header=BB5_24 Depth=3
	v_mov_b32_e32 v11, s44
	ds_read_b64 v[11:12], v11 offset:16
; %bb.36:                               ;   in Loop: Header=BB5_24 Depth=3
	s_or_b64 exec, exec, s[34:35]
	v_cmp_ne_u32_e32 vcc, s40, v13
	s_or_b64 s[34:35], s[8:9], vcc
                                        ; implicit-def: $vgpr14
	s_and_saveexec_b64 s[46:47], s[34:35]
	s_xor_b64 s[34:35], exec, s[46:47]
	s_cbranch_execz .LBB5_38
; %bb.37:                               ;   in Loop: Header=BB5_24 Depth=3
	global_load_dwordx2 v[26:27], v[5:6], off offset:24
	v_mov_b32_e32 v13, s44
	ds_read_b64 v[28:29], v13 offset:24
	s_waitcnt vmcnt(0) lgkmcnt(0)
	v_mul_f32_e32 v13, v29, v27
	v_mul_f32_e32 v14, v28, v27
	v_fma_f32 v13, v28, v26, -v13
	v_fmac_f32_e32 v14, v29, v26
.LBB5_38:                               ;   in Loop: Header=BB5_24 Depth=3
	s_andn2_saveexec_b64 s[34:35], s[34:35]
	s_cbranch_execz .LBB5_23
; %bb.39:                               ;   in Loop: Header=BB5_24 Depth=3
	v_mov_b32_e32 v13, s44
	ds_read_b64 v[13:14], v13 offset:24
	s_branch .LBB5_23
.LBB5_40:                               ;   in Loop: Header=BB5_5 Depth=1
	s_or_b64 exec, exec, s[26:27]
.LBB5_41:                               ;   in Loop: Header=BB5_5 Depth=1
	s_and_saveexec_b64 s[26:27], s[0:1]
	s_cbranch_execz .LBB5_4
; %bb.42:                               ;   in Loop: Header=BB5_5 Depth=1
	v_mad_u64_u32 v[3:4], s[0:1], s10, v19, 0
	v_mov_b32_e32 v1, v4
	v_mad_u64_u32 v[4:5], s[0:1], s11, v19, v[1:2]
	ds_read_b64 v[5:6], v15
	v_mov_b32_e32 v1, s56
	v_lshlrev_b64 v[3:4], 3, v[3:4]
	v_add_co_u32_e32 v3, vcc, s33, v3
	v_addc_co_u32_e32 v4, vcc, v1, v4, vcc
	s_waitcnt lgkmcnt(0)
	global_store_dwordx2 v[3:4], v[5:6], off
	s_branch .LBB5_4
.LBB5_43:
	s_mov_b64 s[0:1], 0
.LBB5_44:
	s_andn2_b64 vcc, exec, s[0:1]
	s_cbranch_vccnz .LBB5_91
; %bb.45:
	s_andn2_b64 vcc, exec, s[6:7]
	s_cbranch_vccnz .LBB5_91
; %bb.46:
	v_mov_b32_e32 v2, 0
	v_mov_b32_e32 v1, v2
	v_mad_u64_u32 v[3:4], s[0:1], v0, v0, v[0:1]
	v_lshlrev_b32_e32 v1, 10, v0
	v_add_co_u32_e32 v7, vcc, 0x40200, v1
	v_or_b32_e32 v1, 0x200, v0
	v_mov_b32_e32 v6, v2
	v_lshlrev_b32_e32 v19, 3, v0
	v_addc_co_u32_e64 v8, s[0:1], 0, 0, vcc
	s_mov_b32 s16, 0
	v_add_u32_e32 v20, 0x201, v0
	v_mov_b32_e32 v21, s15
	s_xor_b64 s[8:9], s[12:13], -1
	v_mov_b32_e32 v5, v1
	s_mov_b64 s[26:27], s[14:15]
	s_branch .LBB5_48
.LBB5_47:                               ;   in Loop: Header=BB5_48 Depth=1
	s_or_b64 exec, exec, s[4:5]
	v_add_co_u32_e32 v9, vcc, 0x80000, v7
	v_addc_co_u32_e32 v10, vcc, 0, v8, vcc
	v_add_co_u32_e32 v3, vcc, v3, v7
	v_addc_co_u32_e32 v4, vcc, v4, v8, vcc
	v_add_co_u32_e32 v5, vcc, 0x200, v5
	s_add_u32 s26, s26, 0x1000
	v_addc_co_u32_e32 v6, vcc, 0, v6, vcc
	v_mov_b32_e32 v7, v9
	s_addc_u32 s27, s27, 0
	v_add_u32_e32 v20, 0x200, v20
	s_and_b64 vcc, exec, s[2:3]
	v_mov_b32_e32 v8, v10
	s_mov_b32 s16, s36
	s_waitcnt vmcnt(0)
	s_barrier
	s_cbranch_vccnz .LBB5_91
.LBB5_48:                               ; =>This Loop Header: Depth=1
                                        ;     Child Loop BB5_52 Depth 2
                                        ;     Child Loop BB5_65 Depth 2
                                        ;       Child Loop BB5_68 Depth 3
	v_add_u32_e32 v22, s16, v0
	v_cmp_le_i32_e32 vcc, s17, v22
	v_cmp_gt_i32_e64 s[0:1], s17, v22
	s_and_saveexec_b64 s[4:5], s[0:1]
	s_cbranch_execz .LBB5_50
; %bb.49:                               ;   in Loop: Header=BB5_48 Depth=1
	v_mad_u64_u32 v[9:10], s[2:3], s10, v22, 0
	v_mov_b32_e32 v1, v10
	v_mad_u64_u32 v[10:11], s[2:3], s11, v22, v[1:2]
	v_mov_b32_e32 v1, s56
	v_lshlrev_b64 v[9:10], 3, v[9:10]
	v_add_co_u32_e64 v9, s[2:3], s33, v9
	v_addc_co_u32_e64 v10, s[2:3], v1, v10, s[2:3]
	global_load_dwordx2 v[9:10], v[9:10], off
	s_waitcnt vmcnt(0)
	ds_write_b64 v19, v[9:10]
.LBB5_50:                               ;   in Loop: Header=BB5_48 Depth=1
	s_or_b64 exec, exec, s[4:5]
	v_lshlrev_b64 v[9:10], 2, v[3:4]
	v_mov_b32_e32 v1, s27
	v_and_b32_e32 v9, -8, v9
	v_add_co_u32_e64 v9, s[2:3], s26, v9
	v_addc_co_u32_e64 v10, s[2:3], v1, v10, s[2:3]
	v_or_b32_e32 v1, s16, v0
	v_add_u32_e32 v11, 1, v1
	v_mad_u64_u32 v[11:12], s[2:3], v11, v1, 0
	v_lshlrev_b64 v[13:14], 3, v[1:2]
	v_cmp_le_i32_e64 s[2:3], s17, v1
	v_lshlrev_b64 v[11:12], 2, v[11:12]
	v_add_co_u32_e64 v1, s[4:5], s14, v13
	v_addc_co_u32_e64 v13, s[4:5], v21, v14, s[4:5]
	v_and_b32_e32 v11, -8, v11
	v_add_co_u32_e64 v11, s[4:5], v1, v11
	v_addc_co_u32_e64 v12, s[4:5], v13, v12, s[4:5]
	s_mov_b32 s34, 0
	s_xor_b64 s[4:5], vcc, -1
	s_mov_b32 s35, 0
	s_waitcnt lgkmcnt(0)
	s_barrier
	s_branch .LBB5_52
.LBB5_51:                               ;   in Loop: Header=BB5_52 Depth=2
	s_or_b64 exec, exec, s[28:29]
	s_add_i32 s35, s35, 1
	s_add_i32 s34, s34, 8
	v_add_co_u32_e32 v9, vcc, 8, v9
	s_cmpk_eq_i32 s35, 0x200
	v_addc_co_u32_e32 v10, vcc, 0, v10, vcc
	s_cbranch_scc1 .LBB5_61
.LBB5_52:                               ;   Parent Loop BB5_48 Depth=1
                                        ; =>  This Inner Loop Header: Depth=2
	v_cmp_ne_u32_e32 vcc, s35, v0
	s_or_b64 s[28:29], s[12:13], vcc
	s_nor_b64 s[30:31], s[28:29], s[2:3]
	s_and_saveexec_b64 s[28:29], s[30:31]
	s_cbranch_execz .LBB5_58
; %bb.53:                               ;   in Loop: Header=BB5_52 Depth=2
	global_load_dwordx2 v[13:14], v[11:12], off
	ds_read_b64 v[15:16], v19
                                        ; implicit-def: $vgpr17
	s_waitcnt vmcnt(0)
	v_cmp_ngt_f32_e64 s[30:31], |v13|, |v14|
	s_and_saveexec_b64 s[36:37], s[30:31]
	s_xor_b64 s[30:31], exec, s[36:37]
	s_cbranch_execz .LBB5_55
; %bb.54:                               ;   in Loop: Header=BB5_52 Depth=2
	v_div_scale_f32 v1, s[36:37], v14, v14, v13
	v_div_scale_f32 v17, vcc, v13, v14, v13
	v_rcp_f32_e32 v18, v1
	v_fma_f32 v23, -v1, v18, 1.0
	v_fmac_f32_e32 v18, v23, v18
	v_mul_f32_e32 v23, v17, v18
	v_fma_f32 v24, -v1, v23, v17
	v_fmac_f32_e32 v23, v24, v18
	v_fma_f32 v1, -v1, v23, v17
	v_div_fmas_f32 v1, v1, v18, v23
	v_div_fixup_f32 v1, v1, v14, v13
	v_fmac_f32_e32 v14, v13, v1
	v_div_scale_f32 v13, s[36:37], v14, v14, 1.0
	v_div_scale_f32 v17, vcc, 1.0, v14, 1.0
	v_rcp_f32_e32 v18, v13
	v_fma_f32 v23, -v13, v18, 1.0
	v_fmac_f32_e32 v18, v23, v18
	v_mul_f32_e32 v23, v17, v18
	v_fma_f32 v24, -v13, v23, v17
	v_fmac_f32_e32 v23, v24, v18
	v_fma_f32 v13, -v13, v23, v17
	v_div_fmas_f32 v13, v13, v18, v23
	s_waitcnt lgkmcnt(0)
	v_fma_f32 v17, v1, v15, v16
	v_fma_f32 v1, v1, v16, -v15
                                        ; implicit-def: $vgpr15_vgpr16
	v_div_fixup_f32 v13, v13, v14, 1.0
	v_mul_f32_e32 v17, v13, v17
	v_mul_f32_e32 v18, v13, v1
                                        ; implicit-def: $vgpr13_vgpr14
.LBB5_55:                               ;   in Loop: Header=BB5_52 Depth=2
	s_andn2_saveexec_b64 s[30:31], s[30:31]
	s_cbranch_execz .LBB5_57
; %bb.56:                               ;   in Loop: Header=BB5_52 Depth=2
	v_div_scale_f32 v1, s[36:37], v13, v13, v14
	v_div_scale_f32 v17, vcc, v14, v13, v14
	v_rcp_f32_e32 v18, v1
	v_fma_f32 v23, -v1, v18, 1.0
	v_fmac_f32_e32 v18, v23, v18
	v_mul_f32_e32 v23, v17, v18
	v_fma_f32 v24, -v1, v23, v17
	v_fmac_f32_e32 v23, v24, v18
	v_fma_f32 v1, -v1, v23, v17
	v_div_fmas_f32 v1, v1, v18, v23
	v_div_fixup_f32 v1, v1, v13, v14
	v_fmac_f32_e32 v13, v14, v1
	v_div_scale_f32 v14, s[36:37], v13, v13, 1.0
	v_div_scale_f32 v17, vcc, 1.0, v13, 1.0
	v_rcp_f32_e32 v18, v14
	v_fma_f32 v23, -v14, v18, 1.0
	v_fmac_f32_e32 v18, v23, v18
	v_mul_f32_e32 v23, v17, v18
	v_fma_f32 v24, -v14, v23, v17
	v_fmac_f32_e32 v23, v24, v18
	v_fma_f32 v14, -v14, v23, v17
	v_div_fmas_f32 v14, v14, v18, v23
	s_waitcnt lgkmcnt(0)
	v_fma_f32 v17, v1, v16, v15
	v_fma_f32 v1, -v1, v15, v16
	v_div_fixup_f32 v13, v14, v13, 1.0
	v_mul_f32_e32 v17, v13, v17
	v_mul_f32_e32 v18, v13, v1
.LBB5_57:                               ;   in Loop: Header=BB5_52 Depth=2
	s_or_b64 exec, exec, s[30:31]
	ds_write_b64 v19, v[17:18]
.LBB5_58:                               ;   in Loop: Header=BB5_52 Depth=2
	s_or_b64 exec, exec, s[28:29]
	v_cmp_lt_u32_e32 vcc, s35, v0
	s_waitcnt lgkmcnt(0)
	s_barrier
	s_and_saveexec_b64 s[28:29], vcc
	s_cbranch_execz .LBB5_51
; %bb.59:                               ;   in Loop: Header=BB5_52 Depth=2
	s_add_i32 s30, s16, s35
	s_cmp_lt_i32 s30, s17
	s_cselect_b64 s[30:31], -1, 0
	s_and_b64 s[30:31], s[4:5], s[30:31]
	s_and_b64 exec, exec, s[30:31]
	s_cbranch_execz .LBB5_51
; %bb.60:                               ;   in Loop: Header=BB5_52 Depth=2
	global_load_dwordx2 v[13:14], v[9:10], off
	v_mov_b32_e32 v1, s34
	ds_read_b64 v[15:16], v1
	ds_read_b64 v[17:18], v19
	s_waitcnt vmcnt(0) lgkmcnt(1)
	v_mul_f32_e32 v1, v16, v14
	v_mul_f32_e32 v14, v15, v14
	v_fma_f32 v1, v15, v13, -v1
	v_fmac_f32_e32 v14, v16, v13
	s_waitcnt lgkmcnt(0)
	v_sub_f32_e32 v13, v17, v1
	v_sub_f32_e32 v14, v18, v14
	ds_write_b64 v19, v[13:14]
	s_branch .LBB5_51
.LBB5_61:                               ;   in Loop: Header=BB5_48 Depth=1
	s_add_i32 s36, s16, 0x200
	s_cmp_ge_i32 s36, s17
	s_cselect_b64 s[2:3], -1, 0
	s_and_b64 vcc, exec, s[2:3]
	s_waitcnt lgkmcnt(0)
	s_barrier
	s_cbranch_vccnz .LBB5_89
; %bb.62:                               ;   in Loop: Header=BB5_48 Depth=1
	v_mov_b32_e32 v10, v6
	s_mov_b64 s[4:5], 0
	v_mov_b32_e32 v1, v20
	v_mov_b32_e32 v9, v5
	;; [unrolled: 1-line block ×3, first 2 shown]
	s_mov_b32 s37, s36
                                        ; implicit-def: $sgpr28_sgpr29
	s_branch .LBB5_65
.LBB5_63:                               ;   in Loop: Header=BB5_65 Depth=2
	v_mad_u64_u32 v[11:12], s[34:35], s10, v14, 0
	s_addk_i32 s37, 0x200
	s_cmp_ge_i32 s37, s17
	v_mad_u64_u32 v[17:18], s[34:35], s11, v14, v[12:13]
	v_mov_b32_e32 v14, s56
	s_cselect_b64 s[34:35], -1, 0
	v_mov_b32_e32 v12, v17
	v_lshlrev_b64 v[11:12], 3, v[11:12]
	s_andn2_b64 s[28:29], s[28:29], exec
	v_add_co_u32_e32 v11, vcc, s33, v11
	v_addc_co_u32_e32 v12, vcc, v14, v12, vcc
	global_load_dwordx2 v[17:18], v[11:12], off
	v_add_co_u32_e32 v9, vcc, 0x200, v9
	s_and_b64 s[34:35], s[34:35], exec
	v_add_u32_e32 v1, 0x200, v1
	v_addc_co_u32_e32 v10, vcc, 0, v10, vcc
	s_or_b64 s[28:29], s[28:29], s[34:35]
	s_waitcnt vmcnt(0)
	v_sub_f32_e32 v14, v17, v16
	v_sub_f32_e32 v15, v18, v15
	global_store_dwordx2 v[11:12], v[14:15], off
.LBB5_64:                               ;   in Loop: Header=BB5_65 Depth=2
	s_or_b64 exec, exec, s[30:31]
	s_and_b64 s[30:31], exec, s[28:29]
	s_or_b64 s[4:5], s[30:31], s[4:5]
	s_andn2_b64 exec, exec, s[4:5]
	s_cbranch_execz .LBB5_88
.LBB5_65:                               ;   Parent Loop BB5_48 Depth=1
                                        ; =>  This Loop Header: Depth=2
                                        ;       Child Loop BB5_68 Depth 3
	v_add_u32_e32 v14, s37, v0
	v_cmp_gt_i32_e32 vcc, s17, v14
	s_or_b64 s[28:29], s[28:29], exec
	s_and_saveexec_b64 s[30:31], vcc
	s_cbranch_execz .LBB5_64
; %bb.66:                               ;   in Loop: Header=BB5_65 Depth=2
	v_mad_u64_u32 v[11:12], s[34:35], v9, v1, 0
	v_add_u32_e32 v17, 0x1fd, v13
	v_add_u32_e32 v18, 0x1fe, v13
	v_mad_u64_u32 v[15:16], s[34:35], v10, v1, v[12:13]
	v_mov_b32_e32 v16, s27
	v_add_u32_e32 v23, 0x1ff, v13
	v_mov_b32_e32 v12, v15
	v_lshlrev_b64 v[11:12], 2, v[11:12]
	v_add_u32_e32 v13, 0x200, v13
	v_and_b32_e32 v11, -8, v11
	v_add_co_u32_e32 v11, vcc, s26, v11
	v_addc_co_u32_e32 v12, vcc, v16, v12, vcc
	v_mov_b32_e32 v15, 0
	s_mov_b32 s38, 0
	s_mov_b32 s39, 0
	v_mov_b32_e32 v16, 0
	s_branch .LBB5_68
.LBB5_67:                               ;   in Loop: Header=BB5_68 Depth=3
	s_or_b64 exec, exec, s[34:35]
	s_add_i32 s39, s39, 4
	s_add_i32 s38, s38, 32
	v_add_co_u32_e32 v11, vcc, 32, v11
	s_cmpk_eq_i32 s39, 0x200
	v_addc_co_u32_e32 v12, vcc, 0, v12, vcc
	s_cbranch_scc1 .LBB5_63
.LBB5_68:                               ;   Parent Loop BB5_48 Depth=1
                                        ;     Parent Loop BB5_65 Depth=2
                                        ; =>    This Inner Loop Header: Depth=3
	v_cmp_ne_u32_e32 vcc, s39, v13
	s_add_i32 s40, s16, s39
	s_or_b64 s[34:35], s[8:9], vcc
	s_and_saveexec_b64 s[42:43], s[34:35]
	s_xor_b64 s[34:35], exec, s[42:43]
	s_cbranch_execz .LBB5_71
; %bb.69:                               ;   in Loop: Header=BB5_68 Depth=3
	s_cmp_ge_i32 s40, s17
	s_cbranch_scc1 .LBB5_71
; %bb.70:                               ;   in Loop: Header=BB5_68 Depth=3
	global_load_dwordx2 v[24:25], v[11:12], off
	v_mov_b32_e32 v26, s38
	ds_read_b64 v[26:27], v26
	s_waitcnt vmcnt(0) lgkmcnt(0)
	v_mul_f32_e32 v28, v27, v25
	v_mul_f32_e32 v25, v26, v25
	v_fma_f32 v26, v26, v24, -v28
	v_fmac_f32_e32 v25, v27, v24
	v_add_f32_e32 v16, v16, v26
	v_add_f32_e32 v15, v15, v25
.LBB5_71:                               ;   in Loop: Header=BB5_68 Depth=3
	s_andn2_saveexec_b64 s[34:35], s[34:35]
	s_cbranch_execz .LBB5_73
; %bb.72:                               ;   in Loop: Header=BB5_68 Depth=3
	v_mov_b32_e32 v24, s38
	ds_read_b64 v[24:25], v24
	s_waitcnt lgkmcnt(0)
	v_add_f32_e32 v16, v16, v24
	v_add_f32_e32 v15, v15, v25
.LBB5_73:                               ;   in Loop: Header=BB5_68 Depth=3
	s_or_b64 exec, exec, s[34:35]
	v_cmp_ne_u32_e32 vcc, s39, v23
	s_or_b64 s[34:35], s[8:9], vcc
	s_and_saveexec_b64 s[42:43], s[34:35]
	s_xor_b64 s[34:35], exec, s[42:43]
	s_cbranch_execz .LBB5_76
; %bb.74:                               ;   in Loop: Header=BB5_68 Depth=3
	s_add_i32 s41, s40, 1
	s_cmp_ge_i32 s41, s17
	s_cbranch_scc1 .LBB5_76
; %bb.75:                               ;   in Loop: Header=BB5_68 Depth=3
	global_load_dwordx2 v[24:25], v[11:12], off offset:8
	v_mov_b32_e32 v26, s38
	ds_read_b64 v[26:27], v26 offset:8
	s_waitcnt vmcnt(0) lgkmcnt(0)
	v_mul_f32_e32 v28, v27, v25
	v_mul_f32_e32 v25, v26, v25
	v_fma_f32 v26, v26, v24, -v28
	v_fmac_f32_e32 v25, v27, v24
	v_add_f32_e32 v16, v16, v26
	v_add_f32_e32 v15, v15, v25
.LBB5_76:                               ;   in Loop: Header=BB5_68 Depth=3
	s_andn2_saveexec_b64 s[34:35], s[34:35]
	s_cbranch_execz .LBB5_78
; %bb.77:                               ;   in Loop: Header=BB5_68 Depth=3
	v_mov_b32_e32 v24, s38
	ds_read_b64 v[24:25], v24 offset:8
	s_waitcnt lgkmcnt(0)
	v_add_f32_e32 v16, v16, v24
	v_add_f32_e32 v15, v15, v25
.LBB5_78:                               ;   in Loop: Header=BB5_68 Depth=3
	s_or_b64 exec, exec, s[34:35]
	v_cmp_ne_u32_e32 vcc, s39, v18
	s_or_b64 s[34:35], s[8:9], vcc
	s_and_saveexec_b64 s[42:43], s[34:35]
	s_xor_b64 s[34:35], exec, s[42:43]
	s_cbranch_execz .LBB5_81
; %bb.79:                               ;   in Loop: Header=BB5_68 Depth=3
	s_add_i32 s41, s40, 2
	s_cmp_ge_i32 s41, s17
	s_cbranch_scc1 .LBB5_81
; %bb.80:                               ;   in Loop: Header=BB5_68 Depth=3
	global_load_dwordx2 v[24:25], v[11:12], off offset:16
	v_mov_b32_e32 v26, s38
	ds_read_b64 v[26:27], v26 offset:16
	s_waitcnt vmcnt(0) lgkmcnt(0)
	v_mul_f32_e32 v28, v27, v25
	v_mul_f32_e32 v25, v26, v25
	v_fma_f32 v26, v26, v24, -v28
	v_fmac_f32_e32 v25, v27, v24
	v_add_f32_e32 v16, v16, v26
	v_add_f32_e32 v15, v15, v25
.LBB5_81:                               ;   in Loop: Header=BB5_68 Depth=3
	s_andn2_saveexec_b64 s[34:35], s[34:35]
	s_cbranch_execz .LBB5_83
; %bb.82:                               ;   in Loop: Header=BB5_68 Depth=3
	v_mov_b32_e32 v24, s38
	ds_read_b64 v[24:25], v24 offset:16
	s_waitcnt lgkmcnt(0)
	v_add_f32_e32 v16, v16, v24
	v_add_f32_e32 v15, v15, v25
.LBB5_83:                               ;   in Loop: Header=BB5_68 Depth=3
	s_or_b64 exec, exec, s[34:35]
	v_cmp_ne_u32_e32 vcc, s39, v17
	s_or_b64 s[34:35], s[8:9], vcc
	s_and_saveexec_b64 s[42:43], s[34:35]
	s_xor_b64 s[34:35], exec, s[42:43]
	s_cbranch_execz .LBB5_86
; %bb.84:                               ;   in Loop: Header=BB5_68 Depth=3
	s_add_i32 s40, s40, 3
	s_cmp_ge_i32 s40, s17
	s_cbranch_scc1 .LBB5_86
; %bb.85:                               ;   in Loop: Header=BB5_68 Depth=3
	global_load_dwordx2 v[24:25], v[11:12], off offset:24
	v_mov_b32_e32 v26, s38
	ds_read_b64 v[26:27], v26 offset:24
	s_waitcnt vmcnt(0) lgkmcnt(0)
	v_mul_f32_e32 v28, v27, v25
	v_mul_f32_e32 v25, v26, v25
	v_fma_f32 v26, v26, v24, -v28
	v_fmac_f32_e32 v25, v27, v24
	v_add_f32_e32 v16, v16, v26
	v_add_f32_e32 v15, v15, v25
.LBB5_86:                               ;   in Loop: Header=BB5_68 Depth=3
	s_andn2_saveexec_b64 s[34:35], s[34:35]
	s_cbranch_execz .LBB5_67
; %bb.87:                               ;   in Loop: Header=BB5_68 Depth=3
	v_mov_b32_e32 v24, s38
	ds_read_b64 v[24:25], v24 offset:24
	s_waitcnt lgkmcnt(0)
	v_add_f32_e32 v16, v16, v24
	v_add_f32_e32 v15, v15, v25
	s_branch .LBB5_67
.LBB5_88:                               ;   in Loop: Header=BB5_48 Depth=1
	s_or_b64 exec, exec, s[4:5]
.LBB5_89:                               ;   in Loop: Header=BB5_48 Depth=1
	s_and_saveexec_b64 s[4:5], s[0:1]
	s_cbranch_execz .LBB5_47
; %bb.90:                               ;   in Loop: Header=BB5_48 Depth=1
	v_mad_u64_u32 v[9:10], s[0:1], s10, v22, 0
	v_mov_b32_e32 v1, v10
	v_mad_u64_u32 v[10:11], s[0:1], s11, v22, v[1:2]
	ds_read_b64 v[11:12], v19
	v_mov_b32_e32 v1, s56
	v_lshlrev_b64 v[9:10], 3, v[9:10]
	v_add_co_u32_e32 v9, vcc, s33, v9
	v_addc_co_u32_e32 v10, vcc, v1, v10, vcc
	s_waitcnt lgkmcnt(0)
	global_store_dwordx2 v[9:10], v[11:12], off
	s_branch .LBB5_47
.LBB5_91:
	s_mov_b64 s[0:1], 0
.LBB5_92:
	s_andn2_b64 vcc, exec, s[0:1]
	s_cbranch_vccnz .LBB5_166
; %bb.93:
	s_mov_b64 s[0:1], -1
	s_and_b64 vcc, exec, s[22:23]
	s_cbranch_vccz .LBB5_132
; %bb.94:
	s_andn2_b64 vcc, exec, s[6:7]
	s_cbranch_vccnz .LBB5_131
; %bb.95:
	s_lshl_b32 s8, s17, 1
	s_or_b32 s16, s8, 1
	s_ashr_i32 s9, s8, 31
	s_add_u32 s0, s20, s24
	s_addc_u32 s1, s21, s25
	s_add_u32 s57, s18, s0
	s_addc_u32 s2, s19, s1
	s_lshl_b64 s[0:1], s[8:9], 9
	s_add_u32 s30, s0, 0xfffc0200
	s_addc_u32 s31, s1, -1
	s_add_u32 s58, s57, -8
	s_addc_u32 s59, s2, -1
	s_add_u32 s24, s0, 0xfffbfe00
	s_addc_u32 s25, s1, -1
	s_lshl_b64 s[0:1], s[8:9], 1
	s_add_u32 s18, s0, -6
	v_lshlrev_b32_e32 v14, 3, v0
	s_addc_u32 s19, s1, -1
	v_mov_b32_e32 v15, s2
	v_add_co_u32_e32 v2, vcc, s57, v14
	s_add_u32 s20, s0, -2
	v_mov_b32_e32 v1, 0
	v_addc_co_u32_e32 v3, vcc, 0, v15, vcc
	v_or_b32_e32 v16, 0x200, v0
	s_addc_u32 s21, s1, -1
	s_mov_b64 s[22:23], 0
	v_mov_b32_e32 v17, s15
	s_mov_b64 s[26:27], 0
	s_mov_b64 s[28:29], s[8:9]
	;; [unrolled: 1-line block ×3, first 2 shown]
	s_branch .LBB5_97
.LBB5_96:                               ;   in Loop: Header=BB5_97 Depth=1
	s_or_b64 exec, exec, s[34:35]
	s_add_u32 s0, s30, 0xfff80000
	s_addc_u32 s1, s31, -1
	s_add_u32 s22, s22, s30
	s_addc_u32 s23, s23, s31
	s_add_u32 s28, s28, 0xfffffc00
	s_addc_u32 s29, s29, -1
	s_add_u32 s26, s26, 0xfffffe00
	s_addc_u32 s27, s27, -1
	;; [unrolled: 2-line block ×3, first 2 shown]
	s_add_u32 s8, s8, s24
	s_addc_u32 s9, s9, s25
	s_add_u32 s18, s18, 0xfffff800
	s_addc_u32 s19, s19, -1
	s_add_u32 s20, s20, 0xfffff800
	v_add_u32_e32 v16, 0x200, v16
	s_addc_u32 s21, s21, -1
	s_and_b64 vcc, exec, s[4:5]
	s_mov_b64 s[24:25], s[30:31]
	s_mov_b64 s[30:31], s[0:1]
	;; [unrolled: 1-line block ×3, first 2 shown]
	s_waitcnt vmcnt(0)
	s_barrier
	s_cbranch_vccnz .LBB5_131
.LBB5_97:                               ; =>This Loop Header: Depth=1
                                        ;     Child Loop BB5_101 Depth 2
                                        ;     Child Loop BB5_114 Depth 2
                                        ;       Child Loop BB5_116 Depth 3
	v_add_u32_e32 v18, s34, v0
	v_cmp_le_i32_e32 vcc, s17, v18
	v_cmp_gt_i32_e64 s[0:1], s17, v18
	s_and_saveexec_b64 s[4:5], s[0:1]
	s_cbranch_execz .LBB5_99
; %bb.98:                               ;   in Loop: Header=BB5_97 Depth=1
	v_mad_u64_u32 v[4:5], s[2:3], s10, v18, 0
	v_mad_u64_u32 v[5:6], s[2:3], s11, v18, v[5:6]
	v_mov_b32_e32 v6, s56
	v_lshlrev_b64 v[4:5], 3, v[4:5]
	v_add_co_u32_e64 v4, s[2:3], s33, v4
	v_addc_co_u32_e64 v5, s[2:3], v6, v5, s[2:3]
	global_load_dwordx2 v[4:5], v[4:5], off
	s_waitcnt vmcnt(0)
	ds_write_b64 v14, v[4:5]
.LBB5_99:                               ;   in Loop: Header=BB5_97 Depth=1
	s_or_b64 exec, exec, s[4:5]
	v_or_b32_e32 v7, s34, v0
	v_sub_u32_e32 v6, s16, v7
	v_mad_u64_u32 v[4:5], s[2:3], v6, v7, 0
	v_ashrrev_i32_e32 v6, 31, v6
	s_mov_b32 s46, 0
	v_mad_u64_u32 v[5:6], s[2:3], v6, v7, v[5:6]
	v_cmp_le_i32_e64 s[2:3], s17, v7
	v_mov_b32_e32 v7, v3
	v_lshlrev_b64 v[4:5], 2, v[4:5]
	s_xor_b64 s[36:37], vcc, -1
	v_and_b32_e32 v4, -8, v4
	v_add_co_u32_e64 v4, s[4:5], s14, v4
	v_addc_co_u32_e64 v5, s[4:5], v17, v5, s[4:5]
	s_mov_b64 s[4:5], 0
	s_mov_b64 s[38:39], s[22:23]
	;; [unrolled: 1-line block ×3, first 2 shown]
	v_mov_b32_e32 v6, v2
	s_waitcnt lgkmcnt(0)
	s_barrier
	s_branch .LBB5_101
.LBB5_100:                              ;   in Loop: Header=BB5_101 Depth=2
	s_or_b64 exec, exec, s[42:43]
	s_add_u32 s4, s4, 1
	s_addc_u32 s5, s5, 0
	s_add_u32 s42, s40, -2
	s_addc_u32 s43, s41, -1
	s_add_u32 s38, s38, s40
	v_add_co_u32_e32 v6, vcc, -8, v6
	s_addc_u32 s39, s39, s41
	s_add_i32 s46, s46, 8
	v_addc_co_u32_e32 v7, vcc, -1, v7, vcc
	s_cmpk_eq_i32 s4, 0x200
	s_mov_b64 s[40:41], s[42:43]
	s_cbranch_scc1 .LBB5_110
.LBB5_101:                              ;   Parent Loop BB5_97 Depth=1
                                        ; =>  This Inner Loop Header: Depth=2
	v_cmp_ne_u32_e32 vcc, s4, v0
	s_or_b64 s[42:43], s[12:13], vcc
	s_nor_b64 s[44:45], s[42:43], s[2:3]
	s_and_saveexec_b64 s[42:43], s[44:45]
	s_cbranch_execz .LBB5_107
; %bb.102:                              ;   in Loop: Header=BB5_101 Depth=2
	global_load_dwordx2 v[8:9], v[4:5], off
	ds_read_b64 v[10:11], v14
                                        ; implicit-def: $vgpr12
	s_waitcnt vmcnt(0)
	v_cmp_ngt_f32_e64 s[44:45], |v8|, |v9|
	s_and_saveexec_b64 s[48:49], s[44:45]
	s_xor_b64 s[44:45], exec, s[48:49]
	s_cbranch_execz .LBB5_104
; %bb.103:                              ;   in Loop: Header=BB5_101 Depth=2
	v_div_scale_f32 v12, s[48:49], v9, v9, v8
	v_div_scale_f32 v13, vcc, v8, v9, v8
	v_rcp_f32_e32 v19, v12
	v_fma_f32 v20, -v12, v19, 1.0
	v_fmac_f32_e32 v19, v20, v19
	v_mul_f32_e32 v20, v13, v19
	v_fma_f32 v21, -v12, v20, v13
	v_fmac_f32_e32 v20, v21, v19
	v_fma_f32 v12, -v12, v20, v13
	v_div_fmas_f32 v12, v12, v19, v20
	v_div_fixup_f32 v12, v12, v9, v8
	v_fmac_f32_e32 v9, v8, v12
	v_div_scale_f32 v8, s[48:49], v9, v9, 1.0
	v_div_scale_f32 v13, vcc, 1.0, v9, 1.0
	v_rcp_f32_e32 v19, v8
	v_fma_f32 v20, -v8, v19, 1.0
	v_fmac_f32_e32 v19, v20, v19
	v_mul_f32_e32 v20, v13, v19
	v_fma_f32 v21, -v8, v20, v13
	v_fmac_f32_e32 v20, v21, v19
	v_fma_f32 v8, -v8, v20, v13
	v_div_fmas_f32 v8, v8, v19, v20
	s_waitcnt lgkmcnt(0)
	v_fma_f32 v13, v12, v10, v11
	v_fma_f32 v10, v12, v11, -v10
	v_div_fixup_f32 v8, v8, v9, 1.0
	v_mul_f32_e32 v12, v8, v13
	v_mul_f32_e32 v13, v8, v10
                                        ; implicit-def: $vgpr8_vgpr9
                                        ; implicit-def: $vgpr10_vgpr11
.LBB5_104:                              ;   in Loop: Header=BB5_101 Depth=2
	s_andn2_saveexec_b64 s[44:45], s[44:45]
	s_cbranch_execz .LBB5_106
; %bb.105:                              ;   in Loop: Header=BB5_101 Depth=2
	v_div_scale_f32 v12, s[48:49], v8, v8, v9
	v_div_scale_f32 v13, vcc, v9, v8, v9
	v_rcp_f32_e32 v19, v12
	v_fma_f32 v20, -v12, v19, 1.0
	v_fmac_f32_e32 v19, v20, v19
	v_mul_f32_e32 v20, v13, v19
	v_fma_f32 v21, -v12, v20, v13
	v_fmac_f32_e32 v20, v21, v19
	v_fma_f32 v12, -v12, v20, v13
	v_div_fmas_f32 v12, v12, v19, v20
	v_div_fixup_f32 v12, v12, v8, v9
	v_fmac_f32_e32 v8, v9, v12
	v_div_scale_f32 v9, s[48:49], v8, v8, 1.0
	v_div_scale_f32 v13, vcc, 1.0, v8, 1.0
	v_rcp_f32_e32 v19, v9
	v_fma_f32 v20, -v9, v19, 1.0
	v_fmac_f32_e32 v19, v20, v19
	v_mul_f32_e32 v20, v13, v19
	v_fma_f32 v21, -v9, v20, v13
	v_fmac_f32_e32 v20, v21, v19
	v_fma_f32 v9, -v9, v20, v13
	v_div_fmas_f32 v9, v9, v19, v20
	s_waitcnt lgkmcnt(0)
	v_fma_f32 v13, v12, v11, v10
	v_fma_f32 v10, -v12, v10, v11
	v_div_fixup_f32 v8, v9, v8, 1.0
	v_mul_f32_e32 v12, v8, v13
	v_mul_f32_e32 v13, v8, v10
.LBB5_106:                              ;   in Loop: Header=BB5_101 Depth=2
	s_or_b64 exec, exec, s[44:45]
	ds_write_b64 v14, v[12:13]
.LBB5_107:                              ;   in Loop: Header=BB5_101 Depth=2
	s_or_b64 exec, exec, s[42:43]
	v_cmp_lt_u32_e32 vcc, s4, v0
	s_waitcnt lgkmcnt(0)
	s_barrier
	s_and_saveexec_b64 s[42:43], vcc
	s_cbranch_execz .LBB5_100
; %bb.108:                              ;   in Loop: Header=BB5_101 Depth=2
	s_add_i32 s44, s34, s4
	s_cmp_lt_i32 s44, s17
	s_cselect_b64 s[44:45], -1, 0
	s_and_b64 s[44:45], s[36:37], s[44:45]
	s_and_b64 exec, exec, s[44:45]
	s_cbranch_execz .LBB5_100
; %bb.109:                              ;   in Loop: Header=BB5_101 Depth=2
	s_lshl_b64 s[44:45], s[38:39], 2
	s_and_b32 s44, s44, -8
	v_mov_b32_e32 v9, s45
	v_add_co_u32_e32 v8, vcc, s44, v6
	v_addc_co_u32_e32 v9, vcc, v7, v9, vcc
	global_load_dwordx2 v[8:9], v[8:9], off
	v_mov_b32_e32 v10, s46
	ds_read_b64 v[10:11], v10
	ds_read_b64 v[12:13], v14
	s_waitcnt vmcnt(0) lgkmcnt(1)
	v_mul_f32_e32 v19, v11, v9
	v_mul_f32_e32 v9, v10, v9
	v_fma_f32 v10, v10, v8, -v19
	v_fmac_f32_e32 v9, v11, v8
	s_waitcnt lgkmcnt(0)
	v_sub_f32_e32 v8, v12, v10
	v_sub_f32_e32 v9, v13, v9
	ds_write_b64 v14, v[8:9]
	s_branch .LBB5_100
.LBB5_110:                              ;   in Loop: Header=BB5_97 Depth=1
	s_add_u32 s2, s34, 0x200
	s_addc_u32 s3, s35, 0
	s_cmp_ge_i32 s2, s17
	s_cselect_b64 s[4:5], -1, 0
	s_and_b64 vcc, exec, s[4:5]
	s_waitcnt lgkmcnt(0)
	s_barrier
	s_cbranch_vccnz .LBB5_129
; %bb.111:                              ;   in Loop: Header=BB5_97 Depth=1
	v_ashrrev_i32_e32 v5, 31, v16
	v_mov_b32_e32 v6, s27
	v_add_co_u32_e32 v4, vcc, s26, v16
	v_addc_co_u32_e32 v5, vcc, v6, v5, vcc
	v_lshlrev_b64 v[6:7], 3, v[4:5]
	v_mov_b32_e32 v5, s59
	v_add_co_u32_e32 v4, vcc, s58, v6
	v_addc_co_u32_e32 v5, vcc, v5, v7, vcc
	v_add_co_u32_e32 v6, vcc, s57, v6
	v_mov_b32_e32 v9, v1
	s_mov_b32 s35, s2
	v_addc_co_u32_e32 v7, vcc, v15, v7, vcc
	s_mov_b64 s[36:37], 0
	v_mov_b32_e32 v8, v0
                                        ; implicit-def: $sgpr38_sgpr39
	s_branch .LBB5_114
.LBB5_112:                              ;   in Loop: Header=BB5_114 Depth=2
	v_mad_u64_u32 v[10:11], s[42:43], s10, v21, 0
	s_addk_i32 s35, 0x200
	s_cmp_ge_i32 s35, s17
	v_mad_u64_u32 v[11:12], s[42:43], s11, v21, v[11:12]
	v_mov_b32_e32 v12, s56
	s_cselect_b64 s[42:43], -1, 0
	v_lshlrev_b64 v[10:11], 3, v[10:11]
	s_andn2_b64 s[38:39], s[38:39], exec
	v_add_co_u32_e32 v10, vcc, s33, v10
	v_addc_co_u32_e32 v11, vcc, v12, v11, vcc
	global_load_dwordx2 v[12:13], v[10:11], off
	v_add_co_u32_e32 v4, vcc, 0x1000, v4
	v_addc_co_u32_e32 v5, vcc, 0, v5, vcc
	v_add_co_u32_e32 v6, vcc, 0x1000, v6
	s_and_b64 s[42:43], s[42:43], exec
	v_addc_co_u32_e32 v7, vcc, 0, v7, vcc
	s_or_b64 s[38:39], s[38:39], s[42:43]
	s_waitcnt vmcnt(0)
	v_sub_f32_e32 v12, v12, v20
	v_sub_f32_e32 v13, v13, v19
	global_store_dwordx2 v[10:11], v[12:13], off
.LBB5_113:                              ;   in Loop: Header=BB5_114 Depth=2
	s_or_b64 exec, exec, s[40:41]
	s_and_b64 s[40:41], exec, s[38:39]
	s_or_b64 s[36:37], s[40:41], s[36:37]
	s_andn2_b64 exec, exec, s[36:37]
	s_cbranch_execz .LBB5_128
.LBB5_114:                              ;   Parent Loop BB5_97 Depth=1
                                        ; =>  This Loop Header: Depth=2
                                        ;       Child Loop BB5_116 Depth 3
	v_add_u32_e32 v21, s35, v0
	v_cmp_gt_i32_e32 vcc, s17, v21
	s_or_b64 s[38:39], s[38:39], exec
	s_and_saveexec_b64 s[40:41], vcc
	s_cbranch_execz .LBB5_113
; %bb.115:                              ;   in Loop: Header=BB5_114 Depth=2
	v_add_co_u32_e32 v22, vcc, 0x1ff, v8
	v_add_co_u32_e32 v8, vcc, 0x200, v8
	v_mov_b32_e32 v11, v7
	v_mov_b32_e32 v13, v5
	v_addc_co_u32_e32 v9, vcc, 0, v9, vcc
	v_mov_b32_e32 v19, 0
	s_mov_b64 s[42:43], 0
	s_mov_b32 s60, 0
	s_mov_b64 s[44:45], s[22:23]
	s_mov_b64 s[48:49], s[20:21]
	v_mov_b32_e32 v10, v6
	s_mov_b64 s[46:47], s[8:9]
	s_mov_b64 s[50:51], s[18:19]
	v_mov_b32_e32 v12, v4
	v_mov_b32_e32 v20, 0
.LBB5_116:                              ;   Parent Loop BB5_97 Depth=1
                                        ;     Parent Loop BB5_114 Depth=2
                                        ; =>    This Inner Loop Header: Depth=3
	v_cmp_ne_u32_e32 vcc, s42, v8
	s_xor_b64 s[52:53], s[12:13], -1
	s_add_u32 s61, s34, s42
	s_or_b64 s[54:55], s[52:53], vcc
	s_and_saveexec_b64 s[62:63], s[54:55]
	s_xor_b64 s[54:55], exec, s[62:63]
	s_cbranch_execz .LBB5_119
; %bb.117:                              ;   in Loop: Header=BB5_116 Depth=3
	s_cmp_ge_i32 s61, s17
	s_cbranch_scc1 .LBB5_119
; %bb.118:                              ;   in Loop: Header=BB5_116 Depth=3
	s_lshl_b64 s[62:63], s[44:45], 2
	s_and_b32 s62, s62, -8
	v_mov_b32_e32 v24, s63
	v_add_co_u32_e32 v23, vcc, s62, v10
	v_addc_co_u32_e32 v24, vcc, v11, v24, vcc
	global_load_dwordx2 v[23:24], v[23:24], off
	v_mov_b32_e32 v25, s60
	ds_read_b64 v[25:26], v25
	s_waitcnt vmcnt(0) lgkmcnt(0)
	v_mul_f32_e32 v27, v26, v24
	v_mul_f32_e32 v24, v25, v24
	v_fma_f32 v25, v25, v23, -v27
	v_fmac_f32_e32 v24, v26, v23
	v_add_f32_e32 v20, v20, v25
	v_add_f32_e32 v19, v19, v24
.LBB5_119:                              ;   in Loop: Header=BB5_116 Depth=3
	s_andn2_saveexec_b64 s[54:55], s[54:55]
	s_cbranch_execz .LBB5_121
; %bb.120:                              ;   in Loop: Header=BB5_116 Depth=3
	v_mov_b32_e32 v23, s60
	ds_read_b64 v[23:24], v23
	s_waitcnt lgkmcnt(0)
	v_add_f32_e32 v20, v20, v23
	v_add_f32_e32 v19, v19, v24
.LBB5_121:                              ;   in Loop: Header=BB5_116 Depth=3
	s_or_b64 exec, exec, s[54:55]
	v_cmp_ne_u32_e32 vcc, s42, v22
	s_or_b64 s[52:53], s[52:53], vcc
	s_and_saveexec_b64 s[54:55], s[52:53]
	s_xor_b64 s[52:53], exec, s[54:55]
	s_cbranch_execz .LBB5_124
; %bb.122:                              ;   in Loop: Header=BB5_116 Depth=3
	s_add_i32 s61, s61, 1
	s_cmp_ge_i32 s61, s17
	s_cbranch_scc1 .LBB5_124
; %bb.123:                              ;   in Loop: Header=BB5_116 Depth=3
	s_lshl_b64 s[54:55], s[46:47], 2
	s_and_b32 s54, s54, -8
	v_mov_b32_e32 v24, s55
	v_add_co_u32_e32 v23, vcc, s54, v12
	v_addc_co_u32_e32 v24, vcc, v13, v24, vcc
	global_load_dwordx2 v[23:24], v[23:24], off
	v_mov_b32_e32 v25, s60
	ds_read_b64 v[25:26], v25 offset:8
	s_waitcnt vmcnt(0) lgkmcnt(0)
	v_mul_f32_e32 v27, v26, v24
	v_mul_f32_e32 v24, v25, v24
	v_fma_f32 v25, v25, v23, -v27
	v_fmac_f32_e32 v24, v26, v23
	v_add_f32_e32 v20, v20, v25
	v_add_f32_e32 v19, v19, v24
.LBB5_124:                              ;   in Loop: Header=BB5_116 Depth=3
	s_andn2_saveexec_b64 s[52:53], s[52:53]
	s_cbranch_execz .LBB5_126
; %bb.125:                              ;   in Loop: Header=BB5_116 Depth=3
	v_mov_b32_e32 v23, s60
	ds_read_b64 v[23:24], v23 offset:8
	s_waitcnt lgkmcnt(0)
	v_add_f32_e32 v20, v20, v23
	v_add_f32_e32 v19, v19, v24
.LBB5_126:                              ;   in Loop: Header=BB5_116 Depth=3
	s_or_b64 exec, exec, s[52:53]
	s_add_u32 s42, s42, 2
	s_addc_u32 s43, s43, 0
	s_add_i32 s60, s60, 16
	s_add_u32 s52, s50, -8
	s_addc_u32 s53, s51, -1
	s_add_u32 s46, s46, s50
	s_addc_u32 s47, s47, s51
	s_add_u32 s50, s48, -8
	v_add_co_u32_e32 v12, vcc, -16, v12
	s_addc_u32 s51, s49, -1
	v_addc_co_u32_e32 v13, vcc, -1, v13, vcc
	s_add_u32 s44, s44, s48
	s_addc_u32 s45, s45, s49
	v_add_co_u32_e32 v10, vcc, -16, v10
	s_cmpk_eq_i32 s42, 0x200
	v_addc_co_u32_e32 v11, vcc, -1, v11, vcc
	s_cbranch_scc1 .LBB5_112
; %bb.127:                              ;   in Loop: Header=BB5_116 Depth=3
	s_mov_b64 s[48:49], s[50:51]
	s_mov_b64 s[50:51], s[52:53]
	s_branch .LBB5_116
.LBB5_128:                              ;   in Loop: Header=BB5_97 Depth=1
	s_or_b64 exec, exec, s[36:37]
.LBB5_129:                              ;   in Loop: Header=BB5_97 Depth=1
	s_and_saveexec_b64 s[34:35], s[0:1]
	s_cbranch_execz .LBB5_96
; %bb.130:                              ;   in Loop: Header=BB5_97 Depth=1
	v_mad_u64_u32 v[4:5], s[0:1], s10, v18, 0
	v_mov_b32_e32 v8, s56
	v_mad_u64_u32 v[5:6], s[0:1], s11, v18, v[5:6]
	ds_read_b64 v[6:7], v14
	v_lshlrev_b64 v[4:5], 3, v[4:5]
	v_add_co_u32_e32 v4, vcc, s33, v4
	v_addc_co_u32_e32 v5, vcc, v8, v5, vcc
	s_waitcnt lgkmcnt(0)
	global_store_dwordx2 v[4:5], v[6:7], off
	s_branch .LBB5_96
.LBB5_131:
	s_mov_b64 s[0:1], 0
.LBB5_132:
	s_andn2_b64 vcc, exec, s[0:1]
	s_cbranch_vccnz .LBB5_166
; %bb.133:
	s_andn2_b64 vcc, exec, s[6:7]
	s_cbranch_vccnz .LBB5_166
; %bb.134:
	v_mov_b32_e32 v1, 0x1000
	v_mov_b32_e32 v3, 0
	s_add_i32 s28, s17, 0xfffffe00
	v_lshl_or_b32 v13, v0, 3, v1
	s_mov_b32 s26, 0
	s_mov_b32 s27, s17
	v_mov_b32_e32 v1, v3
	v_mov_b32_e32 v14, s15
	s_xor_b64 s[4:5], s[12:13], -1
	s_branch .LBB5_136
.LBB5_135:                              ;   in Loop: Header=BB5_136 Depth=1
	s_or_b64 exec, exec, s[6:7]
	s_add_u32 s27, s27, 0xfffffe00
	s_addc_u32 s26, s26, -1
	s_and_b64 vcc, exec, s[2:3]
	s_mov_b32 s28, s15
	s_waitcnt vmcnt(0)
	s_barrier
	s_cbranch_vccnz .LBB5_166
.LBB5_136:                              ; =>This Loop Header: Depth=1
                                        ;     Child Loop BB5_140 Depth 2
                                        ;     Child Loop BB5_152 Depth 2
                                        ;       Child Loop BB5_155 Depth 3
	v_add_u32_e32 v4, s28, v0
	v_cmp_gt_i32_e32 vcc, 0, v4
	v_cmp_lt_i32_e64 s[0:1], -1, v4
	v_mov_b32_e32 v5, v3
	s_and_saveexec_b64 s[6:7], s[0:1]
	s_cbranch_execz .LBB5_138
; %bb.137:                              ;   in Loop: Header=BB5_136 Depth=1
	v_mad_u64_u32 v[6:7], s[2:3], s10, v4, 0
	v_mov_b32_e32 v2, v7
	v_mad_u64_u32 v[7:8], s[2:3], s11, v4, v[2:3]
	v_mov_b32_e32 v2, s56
	v_lshlrev_b64 v[6:7], 3, v[6:7]
	v_add_co_u32_e64 v6, s[2:3], s33, v6
	v_addc_co_u32_e64 v7, s[2:3], v2, v7, s[2:3]
	global_load_dwordx2 v[6:7], v[6:7], off
	s_waitcnt vmcnt(0)
	ds_write_b64 v13, v[6:7]
.LBB5_138:                              ;   in Loop: Header=BB5_136 Depth=1
	s_or_b64 exec, exec, s[6:7]
	v_add_u32_e32 v2, 1, v4
	v_mad_u64_u32 v[8:9], s[2:3], v4, v2, 0
	v_lshlrev_b64 v[10:11], 3, v[4:5]
	v_ashrrev_i32_e32 v7, 31, v4
	v_mov_b32_e32 v6, v4
	v_add_co_u32_e64 v10, s[2:3], s14, v10
	v_lshlrev_b64 v[5:6], 3, v[6:7]
	v_addc_co_u32_e64 v11, s[2:3], v14, v11, s[2:3]
	v_lshlrev_b64 v[7:8], 2, v[8:9]
	v_add_co_u32_e64 v2, s[2:3], s14, v5
	v_addc_co_u32_e64 v15, s[2:3], v14, v6, s[2:3]
	v_and_b32_e32 v5, -8, v7
	v_add_co_u32_e64 v5, s[2:3], v10, v5
	v_addc_co_u32_e64 v6, s[2:3], v11, v8, s[2:3]
	s_or_b64 s[2:3], s[12:13], vcc
	s_movk_i32 s15, 0x1ff
	s_movk_i32 s16, 0x1ff8
	s_xor_b64 s[6:7], s[2:3], -1
	s_waitcnt lgkmcnt(0)
	s_barrier
	s_branch .LBB5_140
.LBB5_139:                              ;   in Loop: Header=BB5_140 Depth=2
	s_or_b64 exec, exec, s[2:3]
	s_add_i32 s15, s15, -1
	s_add_i32 s16, s16, -8
	s_cmp_eq_u32 s15, -1
	s_cbranch_scc1 .LBB5_148
.LBB5_140:                              ;   Parent Loop BB5_136 Depth=1
                                        ; =>  This Inner Loop Header: Depth=2
	v_cmp_eq_u32_e32 vcc, s15, v0
	s_and_b64 s[8:9], vcc, s[6:7]
	s_and_saveexec_b64 s[2:3], s[8:9]
	s_cbranch_execz .LBB5_146
; %bb.141:                              ;   in Loop: Header=BB5_140 Depth=2
	global_load_dwordx2 v[7:8], v[5:6], off
	ds_read_b64 v[9:10], v13
                                        ; implicit-def: $vgpr11
	s_waitcnt vmcnt(0)
	v_cmp_ngt_f32_e64 s[8:9], |v7|, |v8|
	s_and_saveexec_b64 s[18:19], s[8:9]
	s_xor_b64 s[8:9], exec, s[18:19]
	s_cbranch_execz .LBB5_143
; %bb.142:                              ;   in Loop: Header=BB5_140 Depth=2
	v_div_scale_f32 v11, s[18:19], v8, v8, v7
	v_div_scale_f32 v12, vcc, v7, v8, v7
	v_rcp_f32_e32 v16, v11
	v_fma_f32 v17, -v11, v16, 1.0
	v_fmac_f32_e32 v16, v17, v16
	v_mul_f32_e32 v17, v12, v16
	v_fma_f32 v18, -v11, v17, v12
	v_fmac_f32_e32 v17, v18, v16
	v_fma_f32 v11, -v11, v17, v12
	v_div_fmas_f32 v11, v11, v16, v17
	v_div_fixup_f32 v11, v11, v8, v7
	v_fmac_f32_e32 v8, v7, v11
	v_div_scale_f32 v7, s[18:19], v8, v8, 1.0
	v_div_scale_f32 v12, vcc, 1.0, v8, 1.0
	v_rcp_f32_e32 v16, v7
	v_fma_f32 v17, -v7, v16, 1.0
	v_fmac_f32_e32 v16, v17, v16
	v_mul_f32_e32 v17, v12, v16
	v_fma_f32 v18, -v7, v17, v12
	v_fmac_f32_e32 v17, v18, v16
	v_fma_f32 v7, -v7, v17, v12
	v_div_fmas_f32 v7, v7, v16, v17
	s_waitcnt lgkmcnt(0)
	v_fma_f32 v12, v11, v9, v10
	v_fma_f32 v9, v11, v10, -v9
	v_div_fixup_f32 v7, v7, v8, 1.0
	v_mul_f32_e32 v11, v7, v12
	v_mul_f32_e32 v12, v7, v9
                                        ; implicit-def: $vgpr7_vgpr8
                                        ; implicit-def: $vgpr9_vgpr10
.LBB5_143:                              ;   in Loop: Header=BB5_140 Depth=2
	s_andn2_saveexec_b64 s[8:9], s[8:9]
	s_cbranch_execz .LBB5_145
; %bb.144:                              ;   in Loop: Header=BB5_140 Depth=2
	v_div_scale_f32 v11, s[18:19], v7, v7, v8
	v_div_scale_f32 v12, vcc, v8, v7, v8
	v_rcp_f32_e32 v16, v11
	v_fma_f32 v17, -v11, v16, 1.0
	v_fmac_f32_e32 v16, v17, v16
	v_mul_f32_e32 v17, v12, v16
	v_fma_f32 v18, -v11, v17, v12
	v_fmac_f32_e32 v17, v18, v16
	v_fma_f32 v11, -v11, v17, v12
	v_div_fmas_f32 v11, v11, v16, v17
	v_div_fixup_f32 v11, v11, v7, v8
	v_fmac_f32_e32 v7, v8, v11
	v_div_scale_f32 v8, s[18:19], v7, v7, 1.0
	v_div_scale_f32 v12, vcc, 1.0, v7, 1.0
	v_rcp_f32_e32 v16, v8
	v_fma_f32 v17, -v8, v16, 1.0
	v_fmac_f32_e32 v16, v17, v16
	v_mul_f32_e32 v17, v12, v16
	v_fma_f32 v18, -v8, v17, v12
	v_fmac_f32_e32 v17, v18, v16
	v_fma_f32 v8, -v8, v17, v12
	v_div_fmas_f32 v8, v8, v16, v17
	s_waitcnt lgkmcnt(0)
	v_fma_f32 v12, v11, v10, v9
	v_fma_f32 v9, -v11, v9, v10
	v_div_fixup_f32 v7, v8, v7, 1.0
	v_mul_f32_e32 v11, v7, v12
	v_mul_f32_e32 v12, v7, v9
.LBB5_145:                              ;   in Loop: Header=BB5_140 Depth=2
	s_or_b64 exec, exec, s[8:9]
	ds_write_b64 v13, v[11:12]
.LBB5_146:                              ;   in Loop: Header=BB5_140 Depth=2
	s_or_b64 exec, exec, s[2:3]
	s_add_i32 s9, s27, s15
	s_add_i32 s8, s9, 0xfffffe00
	v_or_b32_e32 v7, s8, v4
	v_cmp_gt_u32_e32 vcc, s15, v0
	v_cmp_lt_i32_e64 s[2:3], -1, v7
	s_and_b64 s[18:19], vcc, s[2:3]
	s_waitcnt lgkmcnt(0)
	s_barrier
	s_and_saveexec_b64 s[2:3], s[18:19]
	s_cbranch_execz .LBB5_139
; %bb.147:                              ;   in Loop: Header=BB5_140 Depth=2
	s_add_i32 s17, s9, 0xfffffe01
	s_mul_hi_u32 s9, s17, s8
	s_mul_i32 s8, s17, s8
	s_lshl_b64 s[8:9], s[8:9], 2
	s_and_b32 s8, s8, -8
	v_mov_b32_e32 v8, s9
	v_add_co_u32_e32 v7, vcc, s8, v2
	v_addc_co_u32_e32 v8, vcc, v15, v8, vcc
	global_load_dwordx2 v[7:8], v[7:8], off
	v_mov_b32_e32 v9, s16
	ds_read_b64 v[9:10], v9
	ds_read_b64 v[11:12], v13
	s_waitcnt vmcnt(0) lgkmcnt(1)
	v_mul_f32_e32 v16, v10, v8
	v_mul_f32_e32 v8, v9, v8
	v_fma_f32 v9, v9, v7, -v16
	v_fmac_f32_e32 v8, v10, v7
	s_waitcnt lgkmcnt(0)
	v_sub_f32_e32 v7, v11, v9
	v_sub_f32_e32 v8, v12, v8
	ds_write_b64 v13, v[7:8]
	s_branch .LBB5_139
.LBB5_148:                              ;   in Loop: Header=BB5_136 Depth=1
	s_add_i32 s15, s28, 0xfffffe00
	s_cmp_lt_i32 s28, 1
	s_cselect_b64 s[2:3], -1, 0
	s_and_b64 vcc, exec, s[2:3]
	s_waitcnt lgkmcnt(0)
	s_barrier
	s_cbranch_vccnz .LBB5_164
; %bb.149:                              ;   in Loop: Header=BB5_136 Depth=1
	v_mov_b32_e32 v6, v1
	s_mov_b64 s[6:7], 0
	v_mov_b32_e32 v5, v0
	s_mov_b32 s29, s15
                                        ; implicit-def: $sgpr8_sgpr9
	s_branch .LBB5_152
.LBB5_150:                              ;   in Loop: Header=BB5_152 Depth=2
	v_mad_u64_u32 v[7:8], s[18:19], s10, v2, 0
	s_add_i32 s20, s29, 0xfffffe00
	s_cmp_lt_i32 s29, 1
	v_mad_u64_u32 v[8:9], s[18:19], s11, v2, v[8:9]
	v_mov_b32_e32 v2, s56
	s_cselect_b64 s[18:19], -1, 0
	v_lshlrev_b64 v[7:8], 3, v[7:8]
	s_andn2_b64 s[8:9], s[8:9], exec
	v_add_co_u32_e32 v7, vcc, s33, v7
	v_addc_co_u32_e32 v8, vcc, v2, v8, vcc
	global_load_dwordx2 v[9:10], v[7:8], off
	v_add_co_u32_e32 v5, vcc, 0xfffffe00, v5
	s_and_b64 s[18:19], s[18:19], exec
	v_addc_co_u32_e32 v6, vcc, -1, v6, vcc
	s_or_b64 s[8:9], s[8:9], s[18:19]
	s_mov_b32 s29, s20
	s_waitcnt vmcnt(0)
	v_sub_f32_e32 v9, v9, v16
	v_sub_f32_e32 v10, v10, v15
	global_store_dwordx2 v[7:8], v[9:10], off
.LBB5_151:                              ;   in Loop: Header=BB5_152 Depth=2
	s_or_b64 exec, exec, s[16:17]
	s_and_b64 s[16:17], exec, s[8:9]
	s_or_b64 s[6:7], s[16:17], s[6:7]
	s_andn2_b64 exec, exec, s[6:7]
	s_cbranch_execz .LBB5_163
.LBB5_152:                              ;   Parent Loop BB5_136 Depth=1
                                        ; =>  This Loop Header: Depth=2
                                        ;       Child Loop BB5_155 Depth 3
	v_add_u32_e32 v2, s29, v0
	v_cmp_lt_i32_e32 vcc, -1, v2
	s_or_b64 s[8:9], s[8:9], exec
	s_and_saveexec_b64 s[16:17], vcc
	s_cbranch_execz .LBB5_151
; %bb.153:                              ;   in Loop: Header=BB5_152 Depth=2
	v_lshlrev_b64 v[7:8], 3, v[2:3]
	v_mov_b32_e32 v15, 0
	v_add_co_u32_e32 v17, vcc, s14, v7
	v_addc_co_u32_e32 v18, vcc, v14, v8, vcc
	v_add_co_u32_e32 v19, vcc, 0xfffffdff, v5
	v_add_co_u32_e32 v20, vcc, 0xfffffe00, v5
	s_movk_i32 s30, 0x1000
	s_mov_b64 s[18:19], 0
	v_mov_b32_e32 v16, 0
	s_branch .LBB5_155
.LBB5_154:                              ;   in Loop: Header=BB5_155 Depth=3
	s_or_b64 exec, exec, s[20:21]
	s_add_i32 s30, s30, 16
	s_add_u32 s18, s18, 2
	s_waitcnt lgkmcnt(0)
	v_add_f32_e32 v8, v15, v8
	v_add_f32_e32 v7, v16, v7
	s_addc_u32 s19, s19, 0
	v_add_f32_e32 v15, v8, v10
	s_cmpk_eq_i32 s18, 0x200
	v_add_f32_e32 v16, v7, v9
	s_cbranch_scc1 .LBB5_150
.LBB5_155:                              ;   Parent Loop BB5_136 Depth=1
                                        ;     Parent Loop BB5_152 Depth=2
                                        ; =>    This Inner Loop Header: Depth=3
	v_cmp_ne_u32_e32 vcc, s18, v20
	s_or_b64 s[24:25], s[4:5], vcc
                                        ; implicit-def: $vgpr8
                                        ; implicit-def: $sgpr20_sgpr21
                                        ; implicit-def: $sgpr22_sgpr23
	s_and_saveexec_b64 s[34:35], s[24:25]
	s_xor_b64 s[24:25], exec, s[34:35]
	s_cbranch_execz .LBB5_157
; %bb.156:                              ;   in Loop: Header=BB5_155 Depth=3
	s_add_u32 s20, s27, s18
	s_addc_u32 s21, s26, s19
	s_add_u32 s22, s20, 0xfffffe01
	s_addc_u32 s23, s21, 0
	;; [unrolled: 2-line block ×3, first 2 shown]
	s_mul_i32 s34, s22, s34
	s_mul_hi_u32 s35, s22, s31
	s_add_i32 s35, s35, s34
	s_mul_i32 s34, s22, s31
	s_lshl_b64 s[34:35], s[34:35], 2
	s_and_b32 s31, s34, -8
	v_mov_b32_e32 v8, s35
	v_add_co_u32_e32 v7, vcc, s31, v17
	v_addc_co_u32_e32 v8, vcc, v18, v8, vcc
	global_load_dwordx2 v[9:10], v[7:8], off
	v_mov_b32_e32 v7, s30
	ds_read_b64 v[11:12], v7
	s_waitcnt vmcnt(0) lgkmcnt(0)
	v_mul_f32_e32 v7, v12, v10
	v_mul_f32_e32 v8, v11, v10
	v_fma_f32 v7, v11, v9, -v7
	v_fmac_f32_e32 v8, v12, v9
.LBB5_157:                              ;   in Loop: Header=BB5_155 Depth=3
	s_or_saveexec_b64 s[24:25], s[24:25]
	v_mov_b32_e32 v9, s22
	v_mov_b32_e32 v11, s20
	;; [unrolled: 1-line block ×4, first 2 shown]
	s_xor_b64 exec, exec, s[24:25]
	s_cbranch_execz .LBB5_159
; %bb.158:                              ;   in Loop: Header=BB5_155 Depth=3
	v_mov_b32_e32 v7, s30
	ds_read_b64 v[7:8], v7
	s_add_u32 s20, s27, s18
	s_addc_u32 s21, s26, s19
	s_add_u32 s22, s20, 0xfffffe01
	s_addc_u32 s23, s21, 0
	v_mov_b32_e32 v9, s22
	v_mov_b32_e32 v11, s20
	;; [unrolled: 1-line block ×4, first 2 shown]
.LBB5_159:                              ;   in Loop: Header=BB5_155 Depth=3
	s_or_b64 exec, exec, s[24:25]
	v_cmp_ne_u32_e32 vcc, s18, v19
	s_or_b64 s[20:21], s[4:5], vcc
                                        ; implicit-def: $vgpr10
	s_and_saveexec_b64 s[22:23], s[20:21]
	s_xor_b64 s[20:21], exec, s[22:23]
	s_cbranch_execz .LBB5_161
; %bb.160:                              ;   in Loop: Header=BB5_155 Depth=3
	v_add_u32_e32 v10, 0xfffffe02, v11
	v_mad_u64_u32 v[9:10], s[22:23], v10, v9, 0
	v_lshlrev_b64 v[9:10], 2, v[9:10]
	v_and_b32_e32 v9, -8, v9
	v_add_co_u32_e32 v9, vcc, v17, v9
	v_addc_co_u32_e32 v10, vcc, v18, v10, vcc
	global_load_dwordx2 v[11:12], v[9:10], off
	v_mov_b32_e32 v9, s30
	ds_read_b64 v[21:22], v9 offset:8
	s_waitcnt vmcnt(0) lgkmcnt(0)
	v_mul_f32_e32 v9, v22, v12
	v_mul_f32_e32 v10, v21, v12
	v_fma_f32 v9, v21, v11, -v9
	v_fmac_f32_e32 v10, v22, v11
.LBB5_161:                              ;   in Loop: Header=BB5_155 Depth=3
	s_andn2_saveexec_b64 s[20:21], s[20:21]
	s_cbranch_execz .LBB5_154
; %bb.162:                              ;   in Loop: Header=BB5_155 Depth=3
	v_mov_b32_e32 v9, s30
	ds_read_b64 v[9:10], v9 offset:8
	s_branch .LBB5_154
.LBB5_163:                              ;   in Loop: Header=BB5_136 Depth=1
	s_or_b64 exec, exec, s[6:7]
.LBB5_164:                              ;   in Loop: Header=BB5_136 Depth=1
	s_and_saveexec_b64 s[6:7], s[0:1]
	s_cbranch_execz .LBB5_135
; %bb.165:                              ;   in Loop: Header=BB5_136 Depth=1
	v_mad_u64_u32 v[5:6], s[0:1], s10, v4, 0
	v_mov_b32_e32 v2, v6
	v_mad_u64_u32 v[6:7], s[0:1], s11, v4, v[2:3]
	ds_read_b64 v[7:8], v13
	v_mov_b32_e32 v2, s56
	v_lshlrev_b64 v[4:5], 3, v[5:6]
	v_add_co_u32_e32 v4, vcc, s33, v4
	v_addc_co_u32_e32 v5, vcc, v2, v5, vcc
	s_waitcnt lgkmcnt(0)
	global_store_dwordx2 v[4:5], v[7:8], off
	s_branch .LBB5_135
.LBB5_166:
	s_endpgm
	.section	.rodata,"a",@progbits
	.p2align	6, 0x0
	.amdhsa_kernel _ZL19rocblas_tpsv_kernelILb0ELi512EPK19rocblas_complex_numIfEPS1_Ev18rocblas_operation_bbiT1_llT2_lll
		.amdhsa_group_segment_fixed_size 8192
		.amdhsa_private_segment_fixed_size 0
		.amdhsa_kernarg_size 72
		.amdhsa_user_sgpr_count 6
		.amdhsa_user_sgpr_private_segment_buffer 1
		.amdhsa_user_sgpr_dispatch_ptr 0
		.amdhsa_user_sgpr_queue_ptr 0
		.amdhsa_user_sgpr_kernarg_segment_ptr 1
		.amdhsa_user_sgpr_dispatch_id 0
		.amdhsa_user_sgpr_flat_scratch_init 0
		.amdhsa_user_sgpr_private_segment_size 0
		.amdhsa_uses_dynamic_stack 0
		.amdhsa_system_sgpr_private_segment_wavefront_offset 0
		.amdhsa_system_sgpr_workgroup_id_x 1
		.amdhsa_system_sgpr_workgroup_id_y 0
		.amdhsa_system_sgpr_workgroup_id_z 0
		.amdhsa_system_sgpr_workgroup_info 0
		.amdhsa_system_vgpr_workitem_id 0
		.amdhsa_next_free_vgpr 30
		.amdhsa_next_free_sgpr 64
		.amdhsa_reserve_vcc 1
		.amdhsa_reserve_flat_scratch 0
		.amdhsa_float_round_mode_32 0
		.amdhsa_float_round_mode_16_64 0
		.amdhsa_float_denorm_mode_32 3
		.amdhsa_float_denorm_mode_16_64 3
		.amdhsa_dx10_clamp 1
		.amdhsa_ieee_mode 1
		.amdhsa_fp16_overflow 0
		.amdhsa_exception_fp_ieee_invalid_op 0
		.amdhsa_exception_fp_denorm_src 0
		.amdhsa_exception_fp_ieee_div_zero 0
		.amdhsa_exception_fp_ieee_overflow 0
		.amdhsa_exception_fp_ieee_underflow 0
		.amdhsa_exception_fp_ieee_inexact 0
		.amdhsa_exception_int_div_zero 0
	.end_amdhsa_kernel
	.section	.text._ZL19rocblas_tpsv_kernelILb0ELi512EPK19rocblas_complex_numIfEPS1_Ev18rocblas_operation_bbiT1_llT2_lll,"axG",@progbits,_ZL19rocblas_tpsv_kernelILb0ELi512EPK19rocblas_complex_numIfEPS1_Ev18rocblas_operation_bbiT1_llT2_lll,comdat
.Lfunc_end5:
	.size	_ZL19rocblas_tpsv_kernelILb0ELi512EPK19rocblas_complex_numIfEPS1_Ev18rocblas_operation_bbiT1_llT2_lll, .Lfunc_end5-_ZL19rocblas_tpsv_kernelILb0ELi512EPK19rocblas_complex_numIfEPS1_Ev18rocblas_operation_bbiT1_llT2_lll
                                        ; -- End function
	.set _ZL19rocblas_tpsv_kernelILb0ELi512EPK19rocblas_complex_numIfEPS1_Ev18rocblas_operation_bbiT1_llT2_lll.num_vgpr, 30
	.set _ZL19rocblas_tpsv_kernelILb0ELi512EPK19rocblas_complex_numIfEPS1_Ev18rocblas_operation_bbiT1_llT2_lll.num_agpr, 0
	.set _ZL19rocblas_tpsv_kernelILb0ELi512EPK19rocblas_complex_numIfEPS1_Ev18rocblas_operation_bbiT1_llT2_lll.numbered_sgpr, 64
	.set _ZL19rocblas_tpsv_kernelILb0ELi512EPK19rocblas_complex_numIfEPS1_Ev18rocblas_operation_bbiT1_llT2_lll.num_named_barrier, 0
	.set _ZL19rocblas_tpsv_kernelILb0ELi512EPK19rocblas_complex_numIfEPS1_Ev18rocblas_operation_bbiT1_llT2_lll.private_seg_size, 0
	.set _ZL19rocblas_tpsv_kernelILb0ELi512EPK19rocblas_complex_numIfEPS1_Ev18rocblas_operation_bbiT1_llT2_lll.uses_vcc, 1
	.set _ZL19rocblas_tpsv_kernelILb0ELi512EPK19rocblas_complex_numIfEPS1_Ev18rocblas_operation_bbiT1_llT2_lll.uses_flat_scratch, 0
	.set _ZL19rocblas_tpsv_kernelILb0ELi512EPK19rocblas_complex_numIfEPS1_Ev18rocblas_operation_bbiT1_llT2_lll.has_dyn_sized_stack, 0
	.set _ZL19rocblas_tpsv_kernelILb0ELi512EPK19rocblas_complex_numIfEPS1_Ev18rocblas_operation_bbiT1_llT2_lll.has_recursion, 0
	.set _ZL19rocblas_tpsv_kernelILb0ELi512EPK19rocblas_complex_numIfEPS1_Ev18rocblas_operation_bbiT1_llT2_lll.has_indirect_call, 0
	.section	.AMDGPU.csdata,"",@progbits
; Kernel info:
; codeLenInByte = 7344
; TotalNumSgprs: 68
; NumVgprs: 30
; ScratchSize: 0
; MemoryBound: 0
; FloatMode: 240
; IeeeMode: 1
; LDSByteSize: 8192 bytes/workgroup (compile time only)
; SGPRBlocks: 8
; VGPRBlocks: 7
; NumSGPRsForWavesPerEU: 68
; NumVGPRsForWavesPerEU: 30
; Occupancy: 8
; WaveLimiterHint : 0
; COMPUTE_PGM_RSRC2:SCRATCH_EN: 0
; COMPUTE_PGM_RSRC2:USER_SGPR: 6
; COMPUTE_PGM_RSRC2:TRAP_HANDLER: 0
; COMPUTE_PGM_RSRC2:TGID_X_EN: 1
; COMPUTE_PGM_RSRC2:TGID_Y_EN: 0
; COMPUTE_PGM_RSRC2:TGID_Z_EN: 0
; COMPUTE_PGM_RSRC2:TIDIG_COMP_CNT: 0
	.section	.text._ZL19rocblas_tpsv_kernelILb1ELi512EPK19rocblas_complex_numIdEPS1_Ev18rocblas_operation_bbiT1_llT2_lll,"axG",@progbits,_ZL19rocblas_tpsv_kernelILb1ELi512EPK19rocblas_complex_numIdEPS1_Ev18rocblas_operation_bbiT1_llT2_lll,comdat
	.globl	_ZL19rocblas_tpsv_kernelILb1ELi512EPK19rocblas_complex_numIdEPS1_Ev18rocblas_operation_bbiT1_llT2_lll ; -- Begin function _ZL19rocblas_tpsv_kernelILb1ELi512EPK19rocblas_complex_numIdEPS1_Ev18rocblas_operation_bbiT1_llT2_lll
	.p2align	8
	.type	_ZL19rocblas_tpsv_kernelILb1ELi512EPK19rocblas_complex_numIdEPS1_Ev18rocblas_operation_bbiT1_llT2_lll,@function
_ZL19rocblas_tpsv_kernelILb1ELi512EPK19rocblas_complex_numIdEPS1_Ev18rocblas_operation_bbiT1_llT2_lll: ; @_ZL19rocblas_tpsv_kernelILb1ELi512EPK19rocblas_complex_numIdEPS1_Ev18rocblas_operation_bbiT1_llT2_lll
; %bb.0:
	s_load_dwordx2 s[24:25], s[4:5], 0x0
	s_load_dwordx2 s[14:15], s[4:5], 0x4
	;; [unrolled: 1-line block ×3, first 2 shown]
	s_load_dwordx4 s[0:3], s[4:5], 0x18
	s_load_dwordx2 s[26:27], s[4:5], 0x28
	s_waitcnt lgkmcnt(0)
	s_bitcmp1_b32 s25, 0
	s_cselect_b64 s[8:9], -1, 0
	s_xor_b64 s[20:21], s[8:9], -1
	s_bitcmp1_b32 s14, 8
	s_load_dwordx4 s[8:11], s[4:5], 0x30
	s_load_dwordx2 s[28:29], s[4:5], 0x40
	s_mul_i32 s3, s3, s6
	s_mul_hi_u32 s4, s2, s6
	s_cselect_b64 s[12:13], -1, 0
	s_add_i32 s3, s4, s3
	s_mul_i32 s2, s2, s6
	s_lshl_b64 s[18:19], s[2:3], 4
	s_add_u32 s2, s16, s18
	s_addc_u32 s3, s17, s19
	s_lshl_b64 s[22:23], s[0:1], 4
	s_add_u32 s33, s2, s22
	s_waitcnt lgkmcnt(0)
	s_mul_i32 s0, s29, s6
	s_mul_hi_u32 s1, s28, s6
	s_addc_u32 s54, s3, s23
	s_add_i32 s1, s1, s0
	s_mul_i32 s0, s28, s6
	s_lshl_b64 s[0:1], s[0:1], 4
	s_add_u32 s2, s26, s0
	s_addc_u32 s3, s27, s1
	s_lshl_b64 s[0:1], s[8:9], 4
	s_add_u32 s55, s2, s0
	s_addc_u32 s56, s3, s1
	s_cmp_gt_i32 s15, 0
	s_cselect_b64 s[6:7], -1, 0
	s_cmpk_lg_i32 s24, 0x6f
	s_mov_b64 s[0:1], -1
	s_cbranch_scc0 .LBB6_82
; %bb.1:
	s_and_b64 vcc, exec, s[20:21]
	s_cbranch_vccz .LBB6_44
; %bb.2:
	s_andn2_b64 vcc, exec, s[6:7]
	s_cbranch_vccnz .LBB6_43
; %bb.3:
	s_lshl_b32 s2, s15, 1
	s_add_i32 s28, s15, 0xfffffe00
	s_or_b32 s14, s2, 1
	s_add_u32 s3, s18, s22
	v_lshlrev_b32_e32 v1, 4, v0
	s_addc_u32 s4, s19, s23
	v_or_b32_e32 v25, 0x6000, v1
	v_mov_b32_e32 v2, s4
	v_sub_co_u32_e32 v1, vcc, s3, v1
	v_subbrev_co_u32_e32 v2, vcc, 0, v2, vcc
	v_mov_b32_e32 v3, s17
	v_add_co_u32_e32 v1, vcc, s16, v1
	v_addc_co_u32_e32 v2, vcc, v3, v2, vcc
	s_movk_i32 s0, 0x1ff0
	v_add_co_u32_e32 v26, vcc, s0, v1
	s_ashr_i32 s1, s15, 31
	s_mov_b32 s0, s15
	s_lshl_b64 s[0:1], s[0:1], 4
	s_add_u32 s0, s3, s0
	s_addc_u32 s1, s4, s1
	s_add_u32 s0, s16, s0
	v_sub_u32_e32 v1, s15, v0
	s_addc_u32 s1, s17, s1
	v_add_u32_e32 v28, 0x201, v1
	v_add_u32_e32 v1, s15, v0
	s_add_u32 s4, s0, 0xffffe020
	v_addc_co_u32_e32 v27, vcc, 0, v2, vcc
	v_add_u32_e32 v29, 0xfffffe00, v1
	s_addc_u32 s5, s1, -1
	v_add_u32_e32 v30, 0xfffffc00, v1
	s_ashr_i32 s34, s2, 31
	v_mov_b32_e32 v31, s54
	s_movk_i32 s35, 0x400
	s_movk_i32 s36, 0x401
	;; [unrolled: 1-line block ×5, first 2 shown]
	s_branch .LBB6_5
.LBB6_4:                                ;   in Loop: Header=BB6_5 Depth=1
	s_or_b64 exec, exec, s[8:9]
	s_add_u32 s4, s4, 0xffffe000
	v_add_u32_e32 v28, 0x200, v28
	v_add_u32_e32 v29, 0xfffffe00, v29
	s_addc_u32 s5, s5, -1
	v_add_u32_e32 v30, 0xfffffe00, v30
	s_andn2_b64 vcc, exec, s[2:3]
	s_mov_b32 s28, s40
	s_waitcnt vmcnt(0)
	s_barrier
	s_cbranch_vccz .LBB6_43
.LBB6_5:                                ; =>This Loop Header: Depth=1
                                        ;     Child Loop BB6_9 Depth 2
                                        ;     Child Loop BB6_21 Depth 2
                                        ;       Child Loop BB6_24 Depth 3
	v_add_u32_e32 v32, s28, v0
	v_cmp_gt_i32_e32 vcc, 0, v32
	v_cmp_lt_i32_e64 s[0:1], -1, v32
	s_and_saveexec_b64 s[8:9], s[0:1]
	s_cbranch_execz .LBB6_7
; %bb.6:                                ;   in Loop: Header=BB6_5 Depth=1
	v_mad_u64_u32 v[1:2], s[2:3], s10, v32, 0
	v_mad_u64_u32 v[2:3], s[2:3], s11, v32, v[2:3]
	v_mov_b32_e32 v3, s56
	v_lshlrev_b64 v[1:2], 4, v[1:2]
	v_add_co_u32_e64 v1, s[2:3], s55, v1
	v_addc_co_u32_e64 v2, s[2:3], v3, v2, s[2:3]
	global_load_dwordx4 v[1:4], v[1:2], off
	s_waitcnt vmcnt(0)
	ds_write2_b64 v25, v[1:2], v[3:4] offset1:1
.LBB6_7:                                ;   in Loop: Header=BB6_5 Depth=1
	s_or_b64 exec, exec, s[8:9]
	v_mad_u64_u32 v[1:2], s[2:3], v28, v29, 0
	v_ashrrev_i32_e32 v3, 31, v28
	v_sub_u32_e32 v5, s14, v32
	v_mad_u64_u32 v[2:3], s[2:3], v3, v29, v[2:3]
	v_mad_u64_u32 v[3:4], s[2:3], v5, v32, 0
	v_lshlrev_b64 v[1:2], 3, v[1:2]
	s_movk_i32 s29, 0x1ff
	v_and_b32_e32 v1, -16, v1
	v_add_co_u32_e64 v13, s[2:3], v26, v1
	v_addc_co_u32_e64 v14, s[2:3], v27, v2, s[2:3]
	v_ashrrev_i32_e32 v2, 31, v5
	v_mov_b32_e32 v1, v4
	v_mad_u64_u32 v[1:2], s[2:3], v2, v32, v[1:2]
	s_not_b32 s2, s28
	v_max_i32_e32 v17, s2, v0
	v_mov_b32_e32 v4, v1
	v_lshlrev_b64 v[1:2], 3, v[3:4]
	s_movk_i32 s30, 0x7ff0
	v_and_b32_e32 v1, -16, v1
	v_add_co_u32_e64 v15, s[2:3], s33, v1
	v_addc_co_u32_e64 v16, s[2:3], v31, v2, s[2:3]
	s_or_b64 s[2:3], vcc, s[12:13]
	s_xor_b64 s[2:3], s[2:3], -1
	s_xor_b64 s[8:9], vcc, -1
	s_waitcnt lgkmcnt(0)
	s_barrier
	s_branch .LBB6_9
.LBB6_8:                                ;   in Loop: Header=BB6_9 Depth=2
	s_or_b64 exec, exec, s[24:25]
	s_add_i32 s29, s29, -1
	s_add_i32 s30, s30, -16
	v_add_co_u32_e32 v13, vcc, -16, v13
	s_cmp_eq_u32 s29, -1
	v_addc_co_u32_e32 v14, vcc, -1, v14, vcc
	s_cbranch_scc1 .LBB6_17
.LBB6_9:                                ;   Parent Loop BB6_5 Depth=1
                                        ; =>  This Inner Loop Header: Depth=2
	v_cmp_eq_u32_e32 vcc, s29, v0
	s_and_b64 s[26:27], vcc, s[2:3]
	s_and_saveexec_b64 s[24:25], s[26:27]
	s_cbranch_execz .LBB6_15
; %bb.10:                               ;   in Loop: Header=BB6_9 Depth=2
	global_load_dwordx4 v[5:8], v[15:16], off
	ds_read_b128 v[1:4], v25
                                        ; implicit-def: $vgpr9_vgpr10
	s_waitcnt vmcnt(0)
	v_cmp_ngt_f64_e64 s[26:27], |v[5:6]|, |v[7:8]|
	s_and_saveexec_b64 s[40:41], s[26:27]
	s_xor_b64 s[26:27], exec, s[40:41]
	s_cbranch_execz .LBB6_12
; %bb.11:                               ;   in Loop: Header=BB6_9 Depth=2
	v_div_scale_f64 v[9:10], s[40:41], -v[7:8], -v[7:8], v[5:6]
	v_rcp_f64_e32 v[11:12], v[9:10]
	v_fma_f64 v[18:19], -v[9:10], v[11:12], 1.0
	v_fma_f64 v[11:12], v[11:12], v[18:19], v[11:12]
	v_div_scale_f64 v[18:19], vcc, v[5:6], -v[7:8], v[5:6]
	v_fma_f64 v[20:21], -v[9:10], v[11:12], 1.0
	v_fma_f64 v[11:12], v[11:12], v[20:21], v[11:12]
	v_mul_f64 v[20:21], v[18:19], v[11:12]
	v_fma_f64 v[9:10], -v[9:10], v[20:21], v[18:19]
	v_div_fmas_f64 v[9:10], v[9:10], v[11:12], v[20:21]
	v_div_fixup_f64 v[9:10], v[9:10], -v[7:8], v[5:6]
	v_fma_f64 v[5:6], v[5:6], v[9:10], -v[7:8]
	v_div_scale_f64 v[7:8], s[40:41], v[5:6], v[5:6], 1.0
	v_rcp_f64_e32 v[11:12], v[7:8]
	v_fma_f64 v[18:19], -v[7:8], v[11:12], 1.0
	v_fma_f64 v[11:12], v[11:12], v[18:19], v[11:12]
	v_div_scale_f64 v[18:19], vcc, 1.0, v[5:6], 1.0
	v_fma_f64 v[20:21], -v[7:8], v[11:12], 1.0
	v_fma_f64 v[11:12], v[11:12], v[20:21], v[11:12]
	v_mul_f64 v[20:21], v[18:19], v[11:12]
	v_fma_f64 v[7:8], -v[7:8], v[20:21], v[18:19]
	v_div_fmas_f64 v[7:8], v[7:8], v[11:12], v[20:21]
	s_waitcnt lgkmcnt(0)
	v_fma_f64 v[11:12], v[9:10], v[1:2], v[3:4]
	v_fma_f64 v[1:2], v[9:10], v[3:4], -v[1:2]
	v_div_fixup_f64 v[5:6], v[7:8], v[5:6], 1.0
	v_mul_f64 v[9:10], v[11:12], v[5:6]
	v_mul_f64 v[11:12], v[5:6], v[1:2]
                                        ; implicit-def: $vgpr5_vgpr6
                                        ; implicit-def: $vgpr3_vgpr4
.LBB6_12:                               ;   in Loop: Header=BB6_9 Depth=2
	s_andn2_saveexec_b64 s[26:27], s[26:27]
	s_cbranch_execz .LBB6_14
; %bb.13:                               ;   in Loop: Header=BB6_9 Depth=2
	v_div_scale_f64 v[9:10], s[40:41], v[5:6], v[5:6], -v[7:8]
	v_rcp_f64_e32 v[11:12], v[9:10]
	v_fma_f64 v[18:19], -v[9:10], v[11:12], 1.0
	v_fma_f64 v[11:12], v[11:12], v[18:19], v[11:12]
	v_div_scale_f64 v[18:19], vcc, -v[7:8], v[5:6], -v[7:8]
	v_fma_f64 v[20:21], -v[9:10], v[11:12], 1.0
	v_fma_f64 v[11:12], v[11:12], v[20:21], v[11:12]
	v_mul_f64 v[20:21], v[18:19], v[11:12]
	v_fma_f64 v[9:10], -v[9:10], v[20:21], v[18:19]
	v_div_fmas_f64 v[9:10], v[9:10], v[11:12], v[20:21]
	v_div_fixup_f64 v[9:10], v[9:10], v[5:6], -v[7:8]
	v_fma_f64 v[5:6], -v[7:8], v[9:10], v[5:6]
	v_div_scale_f64 v[7:8], s[40:41], v[5:6], v[5:6], 1.0
	v_rcp_f64_e32 v[11:12], v[7:8]
	v_fma_f64 v[18:19], -v[7:8], v[11:12], 1.0
	v_fma_f64 v[11:12], v[11:12], v[18:19], v[11:12]
	v_div_scale_f64 v[18:19], vcc, 1.0, v[5:6], 1.0
	v_fma_f64 v[20:21], -v[7:8], v[11:12], 1.0
	v_fma_f64 v[11:12], v[11:12], v[20:21], v[11:12]
	v_mul_f64 v[20:21], v[18:19], v[11:12]
	v_fma_f64 v[7:8], -v[7:8], v[20:21], v[18:19]
	v_div_fmas_f64 v[7:8], v[7:8], v[11:12], v[20:21]
	s_waitcnt lgkmcnt(0)
	v_fma_f64 v[11:12], v[9:10], v[3:4], v[1:2]
	v_fma_f64 v[1:2], -v[9:10], v[1:2], v[3:4]
	v_div_fixup_f64 v[5:6], v[7:8], v[5:6], 1.0
	v_mul_f64 v[9:10], v[5:6], v[11:12]
	v_mul_f64 v[11:12], v[1:2], v[5:6]
.LBB6_14:                               ;   in Loop: Header=BB6_9 Depth=2
	s_or_b64 exec, exec, s[26:27]
	ds_write_b128 v25, v[9:12]
.LBB6_15:                               ;   in Loop: Header=BB6_9 Depth=2
	s_or_b64 exec, exec, s[24:25]
	v_cmp_gt_u32_e32 vcc, s29, v17
	s_and_b64 s[26:27], s[8:9], vcc
	s_waitcnt lgkmcnt(0)
	s_barrier
	s_and_saveexec_b64 s[24:25], s[26:27]
	s_cbranch_execz .LBB6_8
; %bb.16:                               ;   in Loop: Header=BB6_9 Depth=2
	global_load_dwordx4 v[1:4], v[13:14], off
	v_mov_b32_e32 v5, s30
	ds_read_b128 v[5:8], v5
	s_waitcnt vmcnt(0) lgkmcnt(0)
	v_mul_f64 v[9:10], v[3:4], v[7:8]
	v_mul_f64 v[3:4], v[3:4], v[5:6]
	v_fma_f64 v[5:6], v[1:2], v[5:6], v[9:10]
	v_fma_f64 v[7:8], v[1:2], v[7:8], -v[3:4]
	ds_read_b128 v[1:4], v25
	s_waitcnt lgkmcnt(0)
	v_add_f64 v[1:2], v[1:2], -v[5:6]
	v_add_f64 v[3:4], v[3:4], -v[7:8]
	ds_write_b128 v25, v[1:4]
	s_branch .LBB6_8
.LBB6_17:                               ;   in Loop: Header=BB6_5 Depth=1
	s_add_i32 s40, s28, 0xfffffe00
	s_cmp_lt_i32 s28, 1
	s_cselect_b64 s[2:3], -1, 0
	s_and_b64 vcc, exec, s[2:3]
	s_waitcnt lgkmcnt(0)
	s_barrier
	s_cbranch_vccnz .LBB6_41
; %bb.18:                               ;   in Loop: Header=BB6_5 Depth=1
	v_mad_i64_i32 v[17:18], s[8:9], v30, -16, s[4:5]
	v_ashrrev_i32_e32 v1, 31, v30
	v_mov_b32_e32 v2, s34
	v_sub_co_u32_e32 v33, vcc, s14, v30
	v_subb_co_u32_e32 v34, vcc, v2, v1, vcc
	s_mov_b64 s[8:9], 0
	v_mov_b32_e32 v35, v30
	v_mov_b32_e32 v36, v0
	s_mov_b32 s41, s40
                                        ; implicit-def: $sgpr24_sgpr25
	s_branch .LBB6_21
.LBB6_19:                               ;   in Loop: Header=BB6_21 Depth=2
	v_mad_u64_u32 v[1:2], s[28:29], s10, v37, 0
	s_add_i32 s30, s41, 0xfffffe00
	s_cmp_lt_i32 s41, 1
	v_mad_u64_u32 v[2:3], s[28:29], s11, v37, v[2:3]
	v_mov_b32_e32 v3, s56
	s_cselect_b64 s[28:29], -1, 0
	v_lshlrev_b64 v[1:2], 4, v[1:2]
	s_andn2_b64 s[24:25], s[24:25], exec
	v_add_co_u32_e32 v5, vcc, s55, v1
	v_addc_co_u32_e32 v6, vcc, v3, v2, vcc
	global_load_dwordx4 v[1:4], v[5:6], off
	v_add_co_u32_e32 v17, vcc, s39, v17
	v_addc_co_u32_e32 v18, vcc, 0, v18, vcc
	v_add_co_u32_e32 v33, vcc, 0x200, v33
	s_and_b64 s[28:29], s[28:29], exec
	v_add_u32_e32 v36, 0xfffffe00, v36
	v_add_u32_e32 v35, 0xfffffe00, v35
	v_addc_co_u32_e32 v34, vcc, 0, v34, vcc
	s_or_b64 s[24:25], s[24:25], s[28:29]
	s_mov_b32 s41, s30
	s_waitcnt vmcnt(0)
	v_add_f64 v[1:2], v[1:2], -v[21:22]
	v_add_f64 v[3:4], v[3:4], -v[19:20]
	global_store_dwordx4 v[5:6], v[1:4], off
.LBB6_20:                               ;   in Loop: Header=BB6_21 Depth=2
	s_or_b64 exec, exec, s[26:27]
	s_and_b64 s[26:27], exec, s[24:25]
	s_or_b64 s[8:9], s[26:27], s[8:9]
	s_andn2_b64 exec, exec, s[8:9]
	s_cbranch_execz .LBB6_40
.LBB6_21:                               ;   Parent Loop BB6_5 Depth=1
                                        ; =>  This Loop Header: Depth=2
                                        ;       Child Loop BB6_24 Depth 3
	v_add_u32_e32 v37, s41, v0
	v_cmp_lt_i32_e32 vcc, -1, v37
	s_or_b64 s[24:25], s[24:25], exec
	s_and_saveexec_b64 s[26:27], vcc
	s_cbranch_execz .LBB6_20
; %bb.22:                               ;   in Loop: Header=BB6_21 Depth=2
	v_mad_u64_u32 v[1:2], s[28:29], v33, v35, 0
	v_mov_b32_e32 v19, 0
	v_mov_b32_e32 v21, 0
	v_mad_u64_u32 v[2:3], s[28:29], v34, v35, v[2:3]
	v_mov_b32_e32 v20, 0
	s_movk_i32 s42, 0x6000
	v_lshlrev_b64 v[1:2], 3, v[1:2]
	v_mov_b32_e32 v22, 0
	v_and_b32_e32 v1, -16, v1
	v_add_co_u32_e32 v23, vcc, v17, v1
	v_addc_co_u32_e32 v24, vcc, v18, v2, vcc
	s_movk_i32 s43, 0x200
	s_branch .LBB6_24
.LBB6_23:                               ;   in Loop: Header=BB6_24 Depth=3
	s_or_b64 exec, exec, s[28:29]
	s_waitcnt lgkmcnt(0)
	v_add_f64 v[3:4], v[19:20], v[3:4]
	v_add_f64 v[1:2], v[21:22], v[1:2]
	s_add_i32 s42, s42, 64
	s_add_i32 s43, s43, -4
	v_add_co_u32_e32 v23, vcc, 64, v23
	s_cmp_eq_u32 s43, 0
	v_addc_co_u32_e32 v24, vcc, 0, v24, vcc
	v_add_f64 v[3:4], v[3:4], v[7:8]
	v_add_f64 v[1:2], v[1:2], v[5:6]
	;; [unrolled: 1-line block ×6, first 2 shown]
	s_cbranch_scc1 .LBB6_19
.LBB6_24:                               ;   Parent Loop BB6_5 Depth=1
                                        ;     Parent Loop BB6_21 Depth=2
                                        ; =>    This Inner Loop Header: Depth=3
	v_add_u32_e32 v13, s43, v36
	v_cmp_ne_u32_e32 vcc, s35, v13
	s_xor_b64 s[28:29], s[12:13], -1
	s_or_b64 s[30:31], s[28:29], vcc
                                        ; implicit-def: $vgpr3_vgpr4
	s_and_saveexec_b64 s[44:45], s[30:31]
	s_xor_b64 s[30:31], exec, s[44:45]
	s_cbranch_execz .LBB6_26
; %bb.25:                               ;   in Loop: Header=BB6_24 Depth=3
	global_load_dwordx4 v[3:6], v[23:24], off offset:-32
	v_mov_b32_e32 v1, s42
	ds_read_b128 v[7:10], v1
	s_waitcnt vmcnt(0) lgkmcnt(0)
	v_mul_f64 v[1:2], v[5:6], v[9:10]
	v_mul_f64 v[5:6], v[5:6], v[7:8]
	v_fma_f64 v[1:2], v[3:4], v[7:8], v[1:2]
	v_fma_f64 v[3:4], v[3:4], v[9:10], -v[5:6]
.LBB6_26:                               ;   in Loop: Header=BB6_24 Depth=3
	s_andn2_saveexec_b64 s[30:31], s[30:31]
; %bb.27:                               ;   in Loop: Header=BB6_24 Depth=3
	v_mov_b32_e32 v1, s42
	ds_read_b128 v[1:4], v1
; %bb.28:                               ;   in Loop: Header=BB6_24 Depth=3
	s_or_b64 exec, exec, s[30:31]
	v_cmp_ne_u32_e32 vcc, s36, v13
	s_or_b64 s[30:31], s[28:29], vcc
                                        ; implicit-def: $vgpr7_vgpr8
	s_and_saveexec_b64 s[44:45], s[30:31]
	s_xor_b64 s[30:31], exec, s[44:45]
	s_cbranch_execz .LBB6_30
; %bb.29:                               ;   in Loop: Header=BB6_24 Depth=3
	global_load_dwordx4 v[7:10], v[23:24], off offset:-16
	v_mov_b32_e32 v5, s42
	ds_read_b128 v[38:41], v5 offset:16
	s_waitcnt vmcnt(0) lgkmcnt(0)
	v_mul_f64 v[5:6], v[9:10], v[40:41]
	v_mul_f64 v[9:10], v[9:10], v[38:39]
	v_fma_f64 v[5:6], v[7:8], v[38:39], v[5:6]
	v_fma_f64 v[7:8], v[7:8], v[40:41], -v[9:10]
.LBB6_30:                               ;   in Loop: Header=BB6_24 Depth=3
	s_andn2_saveexec_b64 s[30:31], s[30:31]
; %bb.31:                               ;   in Loop: Header=BB6_24 Depth=3
	v_mov_b32_e32 v5, s42
	ds_read_b128 v[5:8], v5 offset:16
; %bb.32:                               ;   in Loop: Header=BB6_24 Depth=3
	s_or_b64 exec, exec, s[30:31]
	v_cmp_ne_u32_e32 vcc, s37, v13
	s_or_b64 s[30:31], s[28:29], vcc
                                        ; implicit-def: $vgpr11_vgpr12
	s_and_saveexec_b64 s[44:45], s[30:31]
	s_xor_b64 s[30:31], exec, s[44:45]
	s_cbranch_execz .LBB6_34
; %bb.33:                               ;   in Loop: Header=BB6_24 Depth=3
	global_load_dwordx4 v[38:41], v[23:24], off
	v_mov_b32_e32 v9, s42
	ds_read_b128 v[9:12], v9 offset:32
	s_waitcnt vmcnt(0) lgkmcnt(0)
	v_mul_f64 v[14:15], v[40:41], v[11:12]
	v_mul_f64 v[40:41], v[40:41], v[9:10]
	v_fma_f64 v[9:10], v[38:39], v[9:10], v[14:15]
	v_fma_f64 v[11:12], v[38:39], v[11:12], -v[40:41]
.LBB6_34:                               ;   in Loop: Header=BB6_24 Depth=3
	s_andn2_saveexec_b64 s[30:31], s[30:31]
; %bb.35:                               ;   in Loop: Header=BB6_24 Depth=3
	v_mov_b32_e32 v9, s42
	ds_read_b128 v[9:12], v9 offset:32
; %bb.36:                               ;   in Loop: Header=BB6_24 Depth=3
	s_or_b64 exec, exec, s[30:31]
	v_cmp_ne_u32_e32 vcc, s38, v13
	s_or_b64 s[28:29], s[28:29], vcc
                                        ; implicit-def: $vgpr15_vgpr16
	s_and_saveexec_b64 s[30:31], s[28:29]
	s_xor_b64 s[28:29], exec, s[30:31]
	s_cbranch_execz .LBB6_38
; %bb.37:                               ;   in Loop: Header=BB6_24 Depth=3
	global_load_dwordx4 v[38:41], v[23:24], off offset:16
	v_mov_b32_e32 v13, s42
	ds_read_b128 v[13:16], v13 offset:48
	s_waitcnt vmcnt(0) lgkmcnt(0)
	v_mul_f64 v[42:43], v[40:41], v[15:16]
	v_mul_f64 v[40:41], v[40:41], v[13:14]
	v_fma_f64 v[13:14], v[38:39], v[13:14], v[42:43]
	v_fma_f64 v[15:16], v[38:39], v[15:16], -v[40:41]
.LBB6_38:                               ;   in Loop: Header=BB6_24 Depth=3
	s_andn2_saveexec_b64 s[28:29], s[28:29]
	s_cbranch_execz .LBB6_23
; %bb.39:                               ;   in Loop: Header=BB6_24 Depth=3
	v_mov_b32_e32 v13, s42
	ds_read_b128 v[13:16], v13 offset:48
	s_branch .LBB6_23
.LBB6_40:                               ;   in Loop: Header=BB6_5 Depth=1
	s_or_b64 exec, exec, s[8:9]
.LBB6_41:                               ;   in Loop: Header=BB6_5 Depth=1
	s_and_saveexec_b64 s[8:9], s[0:1]
	s_cbranch_execz .LBB6_4
; %bb.42:                               ;   in Loop: Header=BB6_5 Depth=1
	v_mad_u64_u32 v[5:6], s[0:1], s10, v32, 0
	v_mov_b32_e32 v1, v6
	v_mad_u64_u32 v[6:7], s[0:1], s11, v32, v[1:2]
	ds_read2_b64 v[1:4], v25 offset1:1
	v_mov_b32_e32 v7, s56
	v_lshlrev_b64 v[5:6], 4, v[5:6]
	v_add_co_u32_e32 v5, vcc, s55, v5
	v_addc_co_u32_e32 v6, vcc, v7, v6, vcc
	s_waitcnt lgkmcnt(0)
	global_store_dwordx4 v[5:6], v[1:4], off
	s_branch .LBB6_4
.LBB6_43:
	s_mov_b64 s[0:1], 0
.LBB6_44:
	s_andn2_b64 vcc, exec, s[0:1]
	s_cbranch_vccnz .LBB6_81
; %bb.45:
	s_andn2_b64 vcc, exec, s[6:7]
	s_cbranch_vccnz .LBB6_81
; %bb.46:
	s_add_u32 s0, s18, s22
	s_addc_u32 s1, s19, s23
	v_mov_b32_e32 v1, 0x2000
	s_add_u32 s2, s16, s0
	v_mov_b32_e32 v13, 0
	v_lshl_or_b32 v24, v0, 4, v1
	s_addc_u32 s3, s17, s1
	v_mov_b32_e32 v1, v13
	s_add_u32 s14, s2, 8
	v_mad_u64_u32 v[14:15], s[0:1], v0, v0, v[0:1]
	s_addc_u32 s30, s3, 0
	v_lshlrev_b32_e32 v1, 10, v0
	s_mov_b32 s0, 0x40200
	v_add_co_u32_e32 v18, vcc, s0, v1
	s_add_u32 s31, s2, 16
	v_or_b32_e32 v12, 0x200, v0
	v_mov_b32_e32 v17, v13
	v_addc_co_u32_e64 v19, s[0:1], 0, 0, vcc
	s_addc_u32 s34, s3, 0
	s_mov_b32 s35, 0
	v_add_u32_e32 v25, 0x201, v0
	v_mov_b32_e32 v26, s54
	s_xor_b64 s[8:9], s[12:13], -1
	v_mov_b32_e32 v16, v12
	s_branch .LBB6_48
.LBB6_47:                               ;   in Loop: Header=BB6_48 Depth=1
	s_or_b64 exec, exec, s[4:5]
	v_add_co_u32_e32 v1, vcc, 0x80000, v18
	v_addc_co_u32_e32 v2, vcc, 0, v19, vcc
	v_add_co_u32_e32 v14, vcc, v14, v18
	s_add_u32 s14, s14, 0x2000
	v_addc_co_u32_e32 v15, vcc, v15, v19, vcc
	s_addc_u32 s30, s30, 0
	v_add_co_u32_e32 v16, vcc, 0x200, v16
	s_add_u32 s31, s31, 0x2000
	v_addc_co_u32_e32 v17, vcc, 0, v17, vcc
	v_mov_b32_e32 v19, v2
	s_addc_u32 s34, s34, 0
	v_add_u32_e32 v25, 0x200, v25
	s_and_b64 vcc, exec, s[2:3]
	v_mov_b32_e32 v18, v1
	s_mov_b32 s35, s36
	s_waitcnt vmcnt(0)
	s_barrier
	s_cbranch_vccnz .LBB6_81
.LBB6_48:                               ; =>This Loop Header: Depth=1
                                        ;     Child Loop BB6_52 Depth 2
                                        ;     Child Loop BB6_65 Depth 2
                                        ;       Child Loop BB6_68 Depth 3
	v_add_u32_e32 v27, s35, v0
	v_cmp_le_i32_e32 vcc, s15, v27
	v_cmp_gt_i32_e64 s[0:1], s15, v27
	s_and_saveexec_b64 s[4:5], s[0:1]
	s_cbranch_execz .LBB6_50
; %bb.49:                               ;   in Loop: Header=BB6_48 Depth=1
	v_mad_u64_u32 v[1:2], s[2:3], s10, v27, 0
	v_mad_u64_u32 v[2:3], s[2:3], s11, v27, v[2:3]
	v_mov_b32_e32 v3, s56
	v_lshlrev_b64 v[1:2], 4, v[1:2]
	v_add_co_u32_e64 v1, s[2:3], s55, v1
	v_addc_co_u32_e64 v2, s[2:3], v3, v2, s[2:3]
	global_load_dwordx4 v[1:4], v[1:2], off
	s_waitcnt vmcnt(0)
	ds_write2_b64 v24, v[1:2], v[3:4] offset1:1
.LBB6_50:                               ;   in Loop: Header=BB6_48 Depth=1
	s_or_b64 exec, exec, s[4:5]
	v_lshlrev_b64 v[1:2], 3, v[14:15]
	v_or_b32_e32 v12, s35, v0
	v_and_b32_e32 v1, -16, v1
	v_mov_b32_e32 v3, s30
	v_add_co_u32_e64 v20, s[2:3], s14, v1
	v_add_u32_e32 v1, 1, v12
	v_addc_co_u32_e64 v21, s[2:3], v3, v2, s[2:3]
	v_mad_u64_u32 v[1:2], s[2:3], v1, v12, 0
	v_cmp_le_i32_e64 s[2:3], s15, v12
	s_mov_b32 s28, 0
	v_lshlrev_b64 v[1:2], 3, v[1:2]
	s_movk_i32 s29, 0x2000
	v_and_b32_e32 v1, -16, v1
	v_add_co_u32_e64 v3, s[4:5], s33, v1
	v_addc_co_u32_e64 v4, s[4:5], v26, v2, s[4:5]
	v_lshlrev_b64 v[1:2], 4, v[12:13]
	s_waitcnt lgkmcnt(0)
	v_add_co_u32_e64 v22, s[4:5], v3, v1
	v_addc_co_u32_e64 v23, s[4:5], v4, v2, s[4:5]
	s_xor_b64 s[4:5], vcc, -1
	s_barrier
	s_branch .LBB6_52
.LBB6_51:                               ;   in Loop: Header=BB6_52 Depth=2
	s_or_b64 exec, exec, s[24:25]
	s_add_i32 s28, s28, 1
	s_add_i32 s29, s29, 16
	v_add_co_u32_e32 v20, vcc, 16, v20
	s_cmpk_eq_i32 s28, 0x200
	v_addc_co_u32_e32 v21, vcc, 0, v21, vcc
	s_cbranch_scc1 .LBB6_61
.LBB6_52:                               ;   Parent Loop BB6_48 Depth=1
                                        ; =>  This Inner Loop Header: Depth=2
	v_cmp_ne_u32_e32 vcc, s28, v0
	s_or_b64 s[24:25], s[12:13], vcc
	s_nor_b64 s[26:27], s[24:25], s[2:3]
	s_and_saveexec_b64 s[24:25], s[26:27]
	s_cbranch_execz .LBB6_58
; %bb.53:                               ;   in Loop: Header=BB6_52 Depth=2
	global_load_dwordx4 v[5:8], v[22:23], off
	ds_read_b128 v[1:4], v24
                                        ; implicit-def: $vgpr9_vgpr10
	s_waitcnt vmcnt(0)
	v_cmp_ngt_f64_e64 s[26:27], |v[5:6]|, |v[7:8]|
	s_and_saveexec_b64 s[36:37], s[26:27]
	s_xor_b64 s[26:27], exec, s[36:37]
	s_cbranch_execz .LBB6_55
; %bb.54:                               ;   in Loop: Header=BB6_52 Depth=2
	v_div_scale_f64 v[9:10], s[36:37], -v[7:8], -v[7:8], v[5:6]
	v_rcp_f64_e32 v[11:12], v[9:10]
	v_fma_f64 v[28:29], -v[9:10], v[11:12], 1.0
	v_fma_f64 v[11:12], v[11:12], v[28:29], v[11:12]
	v_div_scale_f64 v[28:29], vcc, v[5:6], -v[7:8], v[5:6]
	v_fma_f64 v[30:31], -v[9:10], v[11:12], 1.0
	v_fma_f64 v[11:12], v[11:12], v[30:31], v[11:12]
	v_mul_f64 v[30:31], v[28:29], v[11:12]
	v_fma_f64 v[9:10], -v[9:10], v[30:31], v[28:29]
	v_div_fmas_f64 v[9:10], v[9:10], v[11:12], v[30:31]
	v_div_fixup_f64 v[9:10], v[9:10], -v[7:8], v[5:6]
	v_fma_f64 v[5:6], v[5:6], v[9:10], -v[7:8]
	v_div_scale_f64 v[7:8], s[36:37], v[5:6], v[5:6], 1.0
	v_rcp_f64_e32 v[11:12], v[7:8]
	v_fma_f64 v[28:29], -v[7:8], v[11:12], 1.0
	v_fma_f64 v[11:12], v[11:12], v[28:29], v[11:12]
	v_div_scale_f64 v[28:29], vcc, 1.0, v[5:6], 1.0
	v_fma_f64 v[30:31], -v[7:8], v[11:12], 1.0
	v_fma_f64 v[11:12], v[11:12], v[30:31], v[11:12]
	v_mul_f64 v[30:31], v[28:29], v[11:12]
	v_fma_f64 v[7:8], -v[7:8], v[30:31], v[28:29]
	v_div_fmas_f64 v[7:8], v[7:8], v[11:12], v[30:31]
	s_waitcnt lgkmcnt(0)
	v_fma_f64 v[11:12], v[9:10], v[1:2], v[3:4]
	v_fma_f64 v[1:2], v[9:10], v[3:4], -v[1:2]
	v_div_fixup_f64 v[5:6], v[7:8], v[5:6], 1.0
	v_mul_f64 v[9:10], v[11:12], v[5:6]
	v_mul_f64 v[11:12], v[5:6], v[1:2]
                                        ; implicit-def: $vgpr5_vgpr6
                                        ; implicit-def: $vgpr3_vgpr4
.LBB6_55:                               ;   in Loop: Header=BB6_52 Depth=2
	s_andn2_saveexec_b64 s[26:27], s[26:27]
	s_cbranch_execz .LBB6_57
; %bb.56:                               ;   in Loop: Header=BB6_52 Depth=2
	v_div_scale_f64 v[9:10], s[36:37], v[5:6], v[5:6], -v[7:8]
	v_rcp_f64_e32 v[11:12], v[9:10]
	v_fma_f64 v[28:29], -v[9:10], v[11:12], 1.0
	v_fma_f64 v[11:12], v[11:12], v[28:29], v[11:12]
	v_div_scale_f64 v[28:29], vcc, -v[7:8], v[5:6], -v[7:8]
	v_fma_f64 v[30:31], -v[9:10], v[11:12], 1.0
	v_fma_f64 v[11:12], v[11:12], v[30:31], v[11:12]
	v_mul_f64 v[30:31], v[28:29], v[11:12]
	v_fma_f64 v[9:10], -v[9:10], v[30:31], v[28:29]
	v_div_fmas_f64 v[9:10], v[9:10], v[11:12], v[30:31]
	v_div_fixup_f64 v[9:10], v[9:10], v[5:6], -v[7:8]
	v_fma_f64 v[5:6], -v[7:8], v[9:10], v[5:6]
	v_div_scale_f64 v[7:8], s[36:37], v[5:6], v[5:6], 1.0
	v_rcp_f64_e32 v[11:12], v[7:8]
	v_fma_f64 v[28:29], -v[7:8], v[11:12], 1.0
	v_fma_f64 v[11:12], v[11:12], v[28:29], v[11:12]
	v_div_scale_f64 v[28:29], vcc, 1.0, v[5:6], 1.0
	v_fma_f64 v[30:31], -v[7:8], v[11:12], 1.0
	v_fma_f64 v[11:12], v[11:12], v[30:31], v[11:12]
	v_mul_f64 v[30:31], v[28:29], v[11:12]
	v_fma_f64 v[7:8], -v[7:8], v[30:31], v[28:29]
	v_div_fmas_f64 v[7:8], v[7:8], v[11:12], v[30:31]
	s_waitcnt lgkmcnt(0)
	v_fma_f64 v[11:12], v[9:10], v[3:4], v[1:2]
	v_fma_f64 v[1:2], -v[9:10], v[1:2], v[3:4]
	v_div_fixup_f64 v[5:6], v[7:8], v[5:6], 1.0
	v_mul_f64 v[9:10], v[5:6], v[11:12]
	v_mul_f64 v[11:12], v[1:2], v[5:6]
.LBB6_57:                               ;   in Loop: Header=BB6_52 Depth=2
	s_or_b64 exec, exec, s[26:27]
	ds_write_b128 v24, v[9:12]
.LBB6_58:                               ;   in Loop: Header=BB6_52 Depth=2
	s_or_b64 exec, exec, s[24:25]
	v_cmp_lt_u32_e32 vcc, s28, v0
	s_waitcnt lgkmcnt(0)
	s_barrier
	s_and_saveexec_b64 s[24:25], vcc
	s_cbranch_execz .LBB6_51
; %bb.59:                               ;   in Loop: Header=BB6_52 Depth=2
	s_add_i32 s26, s35, s28
	s_cmp_lt_i32 s26, s15
	s_cselect_b64 s[26:27], -1, 0
	s_and_b64 s[26:27], s[4:5], s[26:27]
	s_and_b64 exec, exec, s[26:27]
	s_cbranch_execz .LBB6_51
; %bb.60:                               ;   in Loop: Header=BB6_52 Depth=2
	global_load_dwordx4 v[1:4], v[20:21], off offset:-8
	v_mov_b32_e32 v5, s29
	ds_read_b128 v[5:8], v5
	s_waitcnt vmcnt(0) lgkmcnt(0)
	v_mul_f64 v[9:10], v[3:4], v[7:8]
	v_mul_f64 v[3:4], v[3:4], v[5:6]
	v_fma_f64 v[5:6], v[1:2], v[5:6], v[9:10]
	v_fma_f64 v[7:8], v[1:2], v[7:8], -v[3:4]
	ds_read_b128 v[1:4], v24
	s_waitcnt lgkmcnt(0)
	v_add_f64 v[1:2], v[1:2], -v[5:6]
	v_add_f64 v[3:4], v[3:4], -v[7:8]
	ds_write_b128 v24, v[1:4]
	s_branch .LBB6_51
.LBB6_61:                               ;   in Loop: Header=BB6_48 Depth=1
	s_add_i32 s36, s35, 0x200
	s_cmp_ge_i32 s36, s15
	s_cselect_b64 s[2:3], -1, 0
	s_and_b64 vcc, exec, s[2:3]
	s_waitcnt lgkmcnt(0)
	s_barrier
	s_cbranch_vccnz .LBB6_79
; %bb.62:                               ;   in Loop: Header=BB6_48 Depth=1
	v_mov_b32_e32 v1, v16
	s_mov_b64 s[4:5], 0
	v_mov_b32_e32 v9, v25
	v_mov_b32_e32 v2, v17
	;; [unrolled: 1-line block ×3, first 2 shown]
	s_mov_b32 s37, s36
                                        ; implicit-def: $sgpr24_sgpr25
	s_branch .LBB6_65
.LBB6_63:                               ;   in Loop: Header=BB6_65 Depth=2
	v_mad_u64_u32 v[7:8], s[28:29], s10, v11, 0
	s_addk_i32 s37, 0x200
	s_cmp_ge_i32 s37, s15
	v_mad_u64_u32 v[11:12], s[28:29], s11, v11, v[8:9]
	v_mov_b32_e32 v12, s56
	s_cselect_b64 s[28:29], -1, 0
	v_mov_b32_e32 v8, v11
	v_lshlrev_b64 v[7:8], 4, v[7:8]
	s_andn2_b64 s[24:25], s[24:25], exec
	v_add_co_u32_e32 v11, vcc, s55, v7
	v_addc_co_u32_e32 v12, vcc, v12, v8, vcc
	global_load_dwordx4 v[20:23], v[11:12], off
	v_add_co_u32_e32 v1, vcc, 0x200, v1
	s_and_b64 s[28:29], s[28:29], exec
	v_add_u32_e32 v9, 0x200, v9
	v_addc_co_u32_e32 v2, vcc, 0, v2, vcc
	s_or_b64 s[24:25], s[24:25], s[28:29]
	s_waitcnt vmcnt(0)
	v_add_f64 v[5:6], v[20:21], -v[5:6]
	v_add_f64 v[7:8], v[22:23], -v[3:4]
	global_store_dwordx4 v[11:12], v[5:8], off
.LBB6_64:                               ;   in Loop: Header=BB6_65 Depth=2
	s_or_b64 exec, exec, s[26:27]
	s_and_b64 s[26:27], exec, s[24:25]
	s_or_b64 s[4:5], s[26:27], s[4:5]
	s_andn2_b64 exec, exec, s[4:5]
	s_cbranch_execz .LBB6_78
.LBB6_65:                               ;   Parent Loop BB6_48 Depth=1
                                        ; =>  This Loop Header: Depth=2
                                        ;       Child Loop BB6_68 Depth 3
	v_add_u32_e32 v11, s37, v0
	v_cmp_gt_i32_e32 vcc, s15, v11
	s_or_b64 s[24:25], s[24:25], exec
	s_and_saveexec_b64 s[26:27], vcc
	s_cbranch_execz .LBB6_64
; %bb.66:                               ;   in Loop: Header=BB6_65 Depth=2
	v_mad_u64_u32 v[3:4], s[28:29], v1, v9, 0
	v_add_u32_e32 v12, 0x1ff, v10
	v_add_u32_e32 v10, 0x200, v10
	v_mad_u64_u32 v[4:5], s[28:29], v2, v9, v[4:5]
	v_mov_b32_e32 v5, s34
	s_mov_b32 s38, 0
	v_lshlrev_b64 v[3:4], 3, v[3:4]
	s_movk_i32 s39, 0x2000
	v_and_b32_e32 v3, -16, v3
	v_add_co_u32_e32 v7, vcc, s31, v3
	v_addc_co_u32_e32 v8, vcc, v5, v4, vcc
	v_mov_b32_e32 v3, 0
	v_mov_b32_e32 v5, 0
	;; [unrolled: 1-line block ×4, first 2 shown]
	s_branch .LBB6_68
.LBB6_67:                               ;   in Loop: Header=BB6_68 Depth=3
	s_or_b64 exec, exec, s[28:29]
	s_add_i32 s38, s38, 2
	s_add_i32 s39, s39, 32
	v_add_co_u32_e32 v7, vcc, 32, v7
	s_cmpk_eq_i32 s38, 0x200
	v_addc_co_u32_e32 v8, vcc, 0, v8, vcc
	s_cbranch_scc1 .LBB6_63
.LBB6_68:                               ;   Parent Loop BB6_48 Depth=1
                                        ;     Parent Loop BB6_65 Depth=2
                                        ; =>    This Inner Loop Header: Depth=3
	v_cmp_ne_u32_e32 vcc, s38, v10
	s_add_i32 s40, s35, s38
	s_or_b64 s[28:29], s[8:9], vcc
	s_and_saveexec_b64 s[42:43], s[28:29]
	s_xor_b64 s[28:29], exec, s[42:43]
	s_cbranch_execz .LBB6_71
; %bb.69:                               ;   in Loop: Header=BB6_68 Depth=3
	s_cmp_ge_i32 s40, s15
	s_cbranch_scc1 .LBB6_71
; %bb.70:                               ;   in Loop: Header=BB6_68 Depth=3
	global_load_dwordx4 v[20:23], v[7:8], off offset:-16
	v_mov_b32_e32 v28, s39
	ds_read_b128 v[28:31], v28
	s_waitcnt vmcnt(0) lgkmcnt(0)
	v_mul_f64 v[32:33], v[22:23], v[30:31]
	v_mul_f64 v[22:23], v[22:23], v[28:29]
	v_fma_f64 v[28:29], v[20:21], v[28:29], v[32:33]
	v_fma_f64 v[20:21], v[20:21], v[30:31], -v[22:23]
	v_add_f64 v[5:6], v[5:6], v[28:29]
	v_add_f64 v[3:4], v[3:4], v[20:21]
.LBB6_71:                               ;   in Loop: Header=BB6_68 Depth=3
	s_andn2_saveexec_b64 s[28:29], s[28:29]
	s_cbranch_execz .LBB6_73
; %bb.72:                               ;   in Loop: Header=BB6_68 Depth=3
	v_mov_b32_e32 v20, s39
	ds_read_b128 v[20:23], v20
	s_waitcnt lgkmcnt(0)
	v_add_f64 v[5:6], v[5:6], v[20:21]
	v_add_f64 v[3:4], v[3:4], v[22:23]
.LBB6_73:                               ;   in Loop: Header=BB6_68 Depth=3
	s_or_b64 exec, exec, s[28:29]
	v_cmp_ne_u32_e32 vcc, s38, v12
	s_or_b64 s[28:29], s[8:9], vcc
	s_and_saveexec_b64 s[42:43], s[28:29]
	s_xor_b64 s[28:29], exec, s[42:43]
	s_cbranch_execz .LBB6_76
; %bb.74:                               ;   in Loop: Header=BB6_68 Depth=3
	s_add_i32 s40, s40, 1
	s_cmp_ge_i32 s40, s15
	s_cbranch_scc1 .LBB6_76
; %bb.75:                               ;   in Loop: Header=BB6_68 Depth=3
	global_load_dwordx4 v[20:23], v[7:8], off
	v_mov_b32_e32 v28, s39
	ds_read_b128 v[28:31], v28 offset:16
	s_waitcnt vmcnt(0) lgkmcnt(0)
	v_mul_f64 v[32:33], v[22:23], v[30:31]
	v_mul_f64 v[22:23], v[22:23], v[28:29]
	v_fma_f64 v[28:29], v[20:21], v[28:29], v[32:33]
	v_fma_f64 v[20:21], v[20:21], v[30:31], -v[22:23]
	v_add_f64 v[5:6], v[5:6], v[28:29]
	v_add_f64 v[3:4], v[3:4], v[20:21]
.LBB6_76:                               ;   in Loop: Header=BB6_68 Depth=3
	s_andn2_saveexec_b64 s[28:29], s[28:29]
	s_cbranch_execz .LBB6_67
; %bb.77:                               ;   in Loop: Header=BB6_68 Depth=3
	v_mov_b32_e32 v20, s39
	ds_read_b128 v[20:23], v20 offset:16
	s_waitcnt lgkmcnt(0)
	v_add_f64 v[5:6], v[5:6], v[20:21]
	v_add_f64 v[3:4], v[3:4], v[22:23]
	s_branch .LBB6_67
.LBB6_78:                               ;   in Loop: Header=BB6_48 Depth=1
	s_or_b64 exec, exec, s[4:5]
.LBB6_79:                               ;   in Loop: Header=BB6_48 Depth=1
	s_and_saveexec_b64 s[4:5], s[0:1]
	s_cbranch_execz .LBB6_47
; %bb.80:                               ;   in Loop: Header=BB6_48 Depth=1
	v_mad_u64_u32 v[5:6], s[0:1], s10, v27, 0
	v_mov_b32_e32 v1, v6
	v_mad_u64_u32 v[6:7], s[0:1], s11, v27, v[1:2]
	ds_read2_b64 v[1:4], v24 offset1:1
	v_mov_b32_e32 v7, s56
	v_lshlrev_b64 v[5:6], 4, v[5:6]
	v_add_co_u32_e32 v5, vcc, s55, v5
	v_addc_co_u32_e32 v6, vcc, v7, v6, vcc
	s_waitcnt lgkmcnt(0)
	global_store_dwordx4 v[5:6], v[1:4], off
	s_branch .LBB6_47
.LBB6_81:
	s_mov_b64 s[0:1], 0
.LBB6_82:
	s_andn2_b64 vcc, exec, s[0:1]
	s_cbranch_vccnz .LBB6_156
; %bb.83:
	s_mov_b64 s[0:1], -1
	s_and_b64 vcc, exec, s[20:21]
	s_cbranch_vccz .LBB6_122
; %bb.84:
	s_andn2_b64 vcc, exec, s[6:7]
	s_cbranch_vccnz .LBB6_121
; %bb.85:
	s_lshl_b32 s8, s15, 1
	s_or_b32 s14, s8, 1
	s_ashr_i32 s9, s8, 31
	s_add_u32 s0, s18, s22
	s_addc_u32 s1, s19, s23
	s_add_u32 s2, s16, s0
	s_addc_u32 s3, s17, s1
	s_lshl_b64 s[0:1], s[8:9], 9
	s_add_u32 s28, s0, 0xfffc0200
	s_addc_u32 s29, s1, -1
	s_add_u32 s57, s2, -16
	s_addc_u32 s58, s3, -1
	s_add_u32 s22, s0, 0xfffbfe00
	s_addc_u32 s23, s1, -1
	s_lshl_b64 s[0:1], s[8:9], 1
	s_add_u32 s16, s0, -6
	v_lshlrev_b32_e32 v20, 4, v0
	s_addc_u32 s17, s1, -1
	v_mov_b32_e32 v2, s3
	v_add_co_u32_e32 v3, vcc, s2, v20
	s_add_u32 s59, s2, 8
	v_addc_co_u32_e32 v2, vcc, 0, v2, vcc
	s_addc_u32 s60, s3, 0
	v_add_co_u32_e32 v14, vcc, 8, v3
	s_add_u32 s18, s0, -2
	v_mov_b32_e32 v1, 0
	v_addc_co_u32_e32 v15, vcc, 0, v2, vcc
	v_or_b32_e32 v21, 0x200, v0
	s_addc_u32 s19, s1, -1
	s_mov_b64 s[20:21], 0
	v_mov_b32_e32 v22, s54
	s_mov_b64 s[24:25], 0
	s_mov_b64 s[26:27], s[8:9]
	;; [unrolled: 1-line block ×3, first 2 shown]
	s_branch .LBB6_87
.LBB6_86:                               ;   in Loop: Header=BB6_87 Depth=1
	s_or_b64 exec, exec, s[30:31]
	s_add_u32 s0, s28, 0xfff80000
	s_addc_u32 s1, s29, -1
	s_add_u32 s20, s20, s28
	s_addc_u32 s21, s21, s29
	s_add_u32 s26, s26, 0xfffffc00
	s_addc_u32 s27, s27, -1
	s_add_u32 s24, s24, 0xfffffe00
	s_addc_u32 s25, s25, -1
	;; [unrolled: 2-line block ×3, first 2 shown]
	s_add_u32 s8, s8, s22
	s_addc_u32 s9, s9, s23
	s_add_u32 s16, s16, 0xfffff800
	s_addc_u32 s17, s17, -1
	s_add_u32 s18, s18, 0xfffff800
	v_add_u32_e32 v21, 0x200, v21
	s_addc_u32 s19, s19, -1
	s_and_b64 vcc, exec, s[4:5]
	s_mov_b64 s[22:23], s[28:29]
	s_mov_b64 s[28:29], s[0:1]
	;; [unrolled: 1-line block ×3, first 2 shown]
	s_waitcnt vmcnt(0)
	s_barrier
	s_cbranch_vccnz .LBB6_121
.LBB6_87:                               ; =>This Loop Header: Depth=1
                                        ;     Child Loop BB6_91 Depth 2
                                        ;     Child Loop BB6_104 Depth 2
                                        ;       Child Loop BB6_106 Depth 3
	v_add_u32_e32 v23, s30, v0
	v_cmp_le_i32_e32 vcc, s15, v23
	v_cmp_gt_i32_e64 s[0:1], s15, v23
	s_and_saveexec_b64 s[4:5], s[0:1]
	s_cbranch_execz .LBB6_89
; %bb.88:                               ;   in Loop: Header=BB6_87 Depth=1
	v_mad_u64_u32 v[2:3], s[2:3], s10, v23, 0
	v_mad_u64_u32 v[3:4], s[2:3], s11, v23, v[3:4]
	v_mov_b32_e32 v4, s56
	v_lshlrev_b64 v[2:3], 4, v[2:3]
	v_add_co_u32_e64 v2, s[2:3], s55, v2
	v_addc_co_u32_e64 v3, s[2:3], v4, v3, s[2:3]
	global_load_dwordx4 v[2:5], v[2:3], off
	s_waitcnt vmcnt(0)
	ds_write2_b64 v20, v[2:3], v[4:5] offset1:1
.LBB6_89:                               ;   in Loop: Header=BB6_87 Depth=1
	s_or_b64 exec, exec, s[4:5]
	v_or_b32_e32 v5, s30, v0
	v_sub_u32_e32 v4, s14, v5
	v_mad_u64_u32 v[2:3], s[2:3], v4, v5, 0
	v_ashrrev_i32_e32 v4, 31, v4
	v_mov_b32_e32 v19, v15
	v_mad_u64_u32 v[3:4], s[2:3], v4, v5, v[3:4]
	v_cmp_le_i32_e64 s[2:3], s15, v5
	s_mov_b32 s44, 0
	v_lshlrev_b64 v[2:3], 3, v[2:3]
	s_xor_b64 s[34:35], vcc, -1
	v_and_b32_e32 v2, -16, v2
	v_add_co_u32_e64 v16, s[4:5], s33, v2
	v_addc_co_u32_e64 v17, s[4:5], v22, v3, s[4:5]
	s_mov_b64 s[4:5], 0
	s_mov_b64 s[36:37], s[20:21]
	;; [unrolled: 1-line block ×3, first 2 shown]
	v_mov_b32_e32 v18, v14
	s_waitcnt lgkmcnt(0)
	s_barrier
	s_branch .LBB6_91
.LBB6_90:                               ;   in Loop: Header=BB6_91 Depth=2
	s_or_b64 exec, exec, s[40:41]
	s_add_u32 s4, s4, 1
	s_addc_u32 s5, s5, 0
	s_add_u32 s40, s38, -2
	s_addc_u32 s41, s39, -1
	s_add_u32 s36, s36, s38
	v_add_co_u32_e32 v18, vcc, -16, v18
	s_addc_u32 s37, s37, s39
	s_add_i32 s44, s44, 16
	v_addc_co_u32_e32 v19, vcc, -1, v19, vcc
	s_cmpk_eq_i32 s4, 0x200
	s_mov_b64 s[38:39], s[40:41]
	s_cbranch_scc1 .LBB6_100
.LBB6_91:                               ;   Parent Loop BB6_87 Depth=1
                                        ; =>  This Inner Loop Header: Depth=2
	v_cmp_ne_u32_e32 vcc, s4, v0
	s_or_b64 s[40:41], s[12:13], vcc
	s_nor_b64 s[42:43], s[40:41], s[2:3]
	s_and_saveexec_b64 s[40:41], s[42:43]
	s_cbranch_execz .LBB6_97
; %bb.92:                               ;   in Loop: Header=BB6_91 Depth=2
	global_load_dwordx4 v[6:9], v[16:17], off
	ds_read_b128 v[2:5], v20
                                        ; implicit-def: $vgpr10_vgpr11
	s_waitcnt vmcnt(0)
	v_cmp_ngt_f64_e64 s[42:43], |v[6:7]|, |v[8:9]|
	s_and_saveexec_b64 s[46:47], s[42:43]
	s_xor_b64 s[42:43], exec, s[46:47]
	s_cbranch_execz .LBB6_94
; %bb.93:                               ;   in Loop: Header=BB6_91 Depth=2
	v_div_scale_f64 v[10:11], s[46:47], v[8:9], v[8:9], v[6:7]
	v_rcp_f64_e32 v[12:13], v[10:11]
	v_fma_f64 v[24:25], -v[10:11], v[12:13], 1.0
	v_fma_f64 v[12:13], v[12:13], v[24:25], v[12:13]
	v_div_scale_f64 v[24:25], vcc, v[6:7], v[8:9], v[6:7]
	v_fma_f64 v[26:27], -v[10:11], v[12:13], 1.0
	v_fma_f64 v[12:13], v[12:13], v[26:27], v[12:13]
	v_mul_f64 v[26:27], v[24:25], v[12:13]
	v_fma_f64 v[10:11], -v[10:11], v[26:27], v[24:25]
	v_div_fmas_f64 v[10:11], v[10:11], v[12:13], v[26:27]
	v_div_fixup_f64 v[10:11], v[10:11], v[8:9], v[6:7]
	v_fma_f64 v[6:7], v[6:7], v[10:11], v[8:9]
	v_div_scale_f64 v[8:9], s[46:47], v[6:7], v[6:7], 1.0
	v_rcp_f64_e32 v[12:13], v[8:9]
	v_fma_f64 v[24:25], -v[8:9], v[12:13], 1.0
	v_fma_f64 v[12:13], v[12:13], v[24:25], v[12:13]
	v_div_scale_f64 v[24:25], vcc, 1.0, v[6:7], 1.0
	v_fma_f64 v[26:27], -v[8:9], v[12:13], 1.0
	v_fma_f64 v[12:13], v[12:13], v[26:27], v[12:13]
	v_mul_f64 v[26:27], v[24:25], v[12:13]
	v_fma_f64 v[8:9], -v[8:9], v[26:27], v[24:25]
	v_div_fmas_f64 v[8:9], v[8:9], v[12:13], v[26:27]
	s_waitcnt lgkmcnt(0)
	v_fma_f64 v[12:13], v[10:11], v[2:3], v[4:5]
	v_fma_f64 v[2:3], v[10:11], v[4:5], -v[2:3]
	v_div_fixup_f64 v[6:7], v[8:9], v[6:7], 1.0
	v_mul_f64 v[10:11], v[12:13], v[6:7]
	v_mul_f64 v[12:13], v[6:7], v[2:3]
                                        ; implicit-def: $vgpr6_vgpr7
                                        ; implicit-def: $vgpr4_vgpr5
.LBB6_94:                               ;   in Loop: Header=BB6_91 Depth=2
	s_andn2_saveexec_b64 s[42:43], s[42:43]
	s_cbranch_execz .LBB6_96
; %bb.95:                               ;   in Loop: Header=BB6_91 Depth=2
	v_div_scale_f64 v[10:11], s[46:47], v[6:7], v[6:7], v[8:9]
	v_rcp_f64_e32 v[12:13], v[10:11]
	v_fma_f64 v[24:25], -v[10:11], v[12:13], 1.0
	v_fma_f64 v[12:13], v[12:13], v[24:25], v[12:13]
	v_div_scale_f64 v[24:25], vcc, v[8:9], v[6:7], v[8:9]
	v_fma_f64 v[26:27], -v[10:11], v[12:13], 1.0
	v_fma_f64 v[12:13], v[12:13], v[26:27], v[12:13]
	v_mul_f64 v[26:27], v[24:25], v[12:13]
	v_fma_f64 v[10:11], -v[10:11], v[26:27], v[24:25]
	v_div_fmas_f64 v[10:11], v[10:11], v[12:13], v[26:27]
	v_div_fixup_f64 v[10:11], v[10:11], v[6:7], v[8:9]
	v_fma_f64 v[6:7], v[8:9], v[10:11], v[6:7]
	v_div_scale_f64 v[8:9], s[46:47], v[6:7], v[6:7], 1.0
	v_rcp_f64_e32 v[12:13], v[8:9]
	v_fma_f64 v[24:25], -v[8:9], v[12:13], 1.0
	v_fma_f64 v[12:13], v[12:13], v[24:25], v[12:13]
	v_div_scale_f64 v[24:25], vcc, 1.0, v[6:7], 1.0
	v_fma_f64 v[26:27], -v[8:9], v[12:13], 1.0
	v_fma_f64 v[12:13], v[12:13], v[26:27], v[12:13]
	v_mul_f64 v[26:27], v[24:25], v[12:13]
	v_fma_f64 v[8:9], -v[8:9], v[26:27], v[24:25]
	v_div_fmas_f64 v[8:9], v[8:9], v[12:13], v[26:27]
	s_waitcnt lgkmcnt(0)
	v_fma_f64 v[12:13], v[10:11], v[4:5], v[2:3]
	v_fma_f64 v[2:3], -v[10:11], v[2:3], v[4:5]
	v_div_fixup_f64 v[6:7], v[8:9], v[6:7], 1.0
	v_mul_f64 v[10:11], v[6:7], v[12:13]
	v_mul_f64 v[12:13], v[2:3], v[6:7]
.LBB6_96:                               ;   in Loop: Header=BB6_91 Depth=2
	s_or_b64 exec, exec, s[42:43]
	ds_write_b128 v20, v[10:13]
.LBB6_97:                               ;   in Loop: Header=BB6_91 Depth=2
	s_or_b64 exec, exec, s[40:41]
	v_cmp_lt_u32_e32 vcc, s4, v0
	s_waitcnt lgkmcnt(0)
	s_barrier
	s_and_saveexec_b64 s[40:41], vcc
	s_cbranch_execz .LBB6_90
; %bb.98:                               ;   in Loop: Header=BB6_91 Depth=2
	s_add_i32 s42, s30, s4
	s_cmp_lt_i32 s42, s15
	s_cselect_b64 s[42:43], -1, 0
	s_and_b64 s[42:43], s[34:35], s[42:43]
	s_and_b64 exec, exec, s[42:43]
	s_cbranch_execz .LBB6_90
; %bb.99:                               ;   in Loop: Header=BB6_91 Depth=2
	s_lshl_b64 s[42:43], s[36:37], 3
	s_and_b32 s42, s42, -16
	v_mov_b32_e32 v3, s43
	v_add_co_u32_e32 v2, vcc, s42, v18
	v_addc_co_u32_e32 v3, vcc, v19, v3, vcc
	global_load_dwordx4 v[2:5], v[2:3], off offset:-8
	v_mov_b32_e32 v6, s44
	ds_read_b128 v[6:9], v6
	s_waitcnt vmcnt(0) lgkmcnt(0)
	v_mul_f64 v[10:11], v[4:5], v[8:9]
	v_mul_f64 v[8:9], v[2:3], v[8:9]
	v_fma_f64 v[10:11], v[2:3], v[6:7], -v[10:11]
	v_fma_f64 v[6:7], v[4:5], v[6:7], v[8:9]
	ds_read_b128 v[2:5], v20
	s_waitcnt lgkmcnt(0)
	v_add_f64 v[2:3], v[2:3], -v[10:11]
	v_add_f64 v[4:5], v[4:5], -v[6:7]
	ds_write_b128 v20, v[2:5]
	s_branch .LBB6_90
.LBB6_100:                              ;   in Loop: Header=BB6_87 Depth=1
	s_add_u32 s2, s30, 0x200
	s_addc_u32 s3, s31, 0
	s_cmp_ge_i32 s2, s15
	s_cselect_b64 s[4:5], -1, 0
	s_and_b64 vcc, exec, s[4:5]
	s_waitcnt lgkmcnt(0)
	s_barrier
	s_cbranch_vccnz .LBB6_119
; %bb.101:                              ;   in Loop: Header=BB6_87 Depth=1
	v_ashrrev_i32_e32 v3, 31, v21
	v_mov_b32_e32 v4, s25
	v_add_co_u32_e32 v2, vcc, s24, v21
	v_addc_co_u32_e32 v3, vcc, v4, v3, vcc
	v_lshlrev_b64 v[4:5], 4, v[2:3]
	v_mov_b32_e32 v3, s58
	v_add_co_u32_e32 v2, vcc, s57, v4
	v_addc_co_u32_e32 v3, vcc, v3, v5, vcc
	v_mov_b32_e32 v6, s60
	v_add_co_u32_e32 v4, vcc, s59, v4
	v_addc_co_u32_e32 v5, vcc, v6, v5, vcc
	v_mov_b32_e32 v7, v1
	s_mov_b32 s31, s2
	s_mov_b64 s[34:35], 0
	v_mov_b32_e32 v6, v0
                                        ; implicit-def: $sgpr36_sgpr37
	s_branch .LBB6_104
.LBB6_102:                              ;   in Loop: Header=BB6_104 Depth=2
	v_mad_u64_u32 v[12:13], s[40:41], s10, v18, 0
	s_addk_i32 s31, 0x200
	s_cmp_ge_i32 s31, s15
	v_mad_u64_u32 v[16:17], s[40:41], s11, v18, v[13:14]
	v_mov_b32_e32 v17, s56
	s_cselect_b64 s[40:41], -1, 0
	v_mov_b32_e32 v13, v16
	v_lshlrev_b64 v[12:13], 4, v[12:13]
	s_andn2_b64 s[36:37], s[36:37], exec
	v_add_co_u32_e32 v24, vcc, s55, v12
	v_addc_co_u32_e32 v25, vcc, v17, v13, vcc
	global_load_dwordx4 v[16:19], v[24:25], off
	v_add_co_u32_e32 v2, vcc, 0x2000, v2
	v_addc_co_u32_e32 v3, vcc, 0, v3, vcc
	v_add_co_u32_e32 v4, vcc, 0x2000, v4
	s_and_b64 s[40:41], s[40:41], exec
	v_addc_co_u32_e32 v5, vcc, 0, v5, vcc
	s_or_b64 s[36:37], s[36:37], s[40:41]
	s_waitcnt vmcnt(0)
	v_add_f64 v[10:11], v[16:17], -v[10:11]
	v_add_f64 v[12:13], v[18:19], -v[8:9]
	global_store_dwordx4 v[24:25], v[10:13], off
.LBB6_103:                              ;   in Loop: Header=BB6_104 Depth=2
	s_or_b64 exec, exec, s[38:39]
	s_and_b64 s[38:39], exec, s[36:37]
	s_or_b64 s[34:35], s[38:39], s[34:35]
	s_andn2_b64 exec, exec, s[34:35]
	s_cbranch_execz .LBB6_118
.LBB6_104:                              ;   Parent Loop BB6_87 Depth=1
                                        ; =>  This Loop Header: Depth=2
                                        ;       Child Loop BB6_106 Depth 3
	v_add_u32_e32 v18, s31, v0
	v_cmp_gt_i32_e32 vcc, s15, v18
	s_or_b64 s[36:37], s[36:37], exec
	s_and_saveexec_b64 s[38:39], vcc
	s_cbranch_execz .LBB6_103
; %bb.105:                              ;   in Loop: Header=BB6_104 Depth=2
	v_add_co_u32_e32 v19, vcc, 0x1ff, v6
	v_add_co_u32_e32 v6, vcc, 0x200, v6
	v_mov_b32_e32 v8, 0
	v_mov_b32_e32 v13, v5
	;; [unrolled: 1-line block ×4, first 2 shown]
	v_addc_co_u32_e32 v7, vcc, 0, v7, vcc
	v_mov_b32_e32 v9, 0
	s_mov_b64 s[40:41], 0
	s_mov_b32 s61, 0
	s_mov_b64 s[42:43], s[20:21]
	s_mov_b64 s[46:47], s[18:19]
	v_mov_b32_e32 v12, v4
	s_mov_b64 s[44:45], s[8:9]
	s_mov_b64 s[48:49], s[16:17]
	v_mov_b32_e32 v11, 0
	v_mov_b32_e32 v16, v2
.LBB6_106:                              ;   Parent Loop BB6_87 Depth=1
                                        ;     Parent Loop BB6_104 Depth=2
                                        ; =>    This Inner Loop Header: Depth=3
	v_cmp_ne_u32_e32 vcc, s40, v6
	s_xor_b64 s[50:51], s[12:13], -1
	s_add_u32 s62, s30, s40
	s_or_b64 s[52:53], s[50:51], vcc
	s_and_saveexec_b64 s[64:65], s[52:53]
	s_xor_b64 s[52:53], exec, s[64:65]
	s_cbranch_execz .LBB6_109
; %bb.107:                              ;   in Loop: Header=BB6_106 Depth=3
	s_cmp_ge_i32 s62, s15
	s_cbranch_scc1 .LBB6_109
; %bb.108:                              ;   in Loop: Header=BB6_106 Depth=3
	s_lshl_b64 s[64:65], s[42:43], 3
	s_and_b32 s63, s64, -16
	v_mov_b32_e32 v25, s65
	v_add_co_u32_e32 v24, vcc, s63, v12
	v_addc_co_u32_e32 v25, vcc, v13, v25, vcc
	global_load_dwordx4 v[24:27], v[24:25], off offset:-8
	v_mov_b32_e32 v28, s61
	ds_read_b128 v[28:31], v28
	s_waitcnt vmcnt(0) lgkmcnt(0)
	v_mul_f64 v[32:33], v[26:27], v[30:31]
	v_mul_f64 v[30:31], v[24:25], v[30:31]
	v_fma_f64 v[24:25], v[24:25], v[28:29], -v[32:33]
	v_fma_f64 v[26:27], v[26:27], v[28:29], v[30:31]
	v_add_f64 v[10:11], v[10:11], v[24:25]
	v_add_f64 v[8:9], v[8:9], v[26:27]
.LBB6_109:                              ;   in Loop: Header=BB6_106 Depth=3
	s_andn2_saveexec_b64 s[52:53], s[52:53]
	s_cbranch_execz .LBB6_111
; %bb.110:                              ;   in Loop: Header=BB6_106 Depth=3
	v_mov_b32_e32 v24, s61
	ds_read_b128 v[24:27], v24
	s_waitcnt lgkmcnt(0)
	v_add_f64 v[10:11], v[10:11], v[24:25]
	v_add_f64 v[8:9], v[8:9], v[26:27]
.LBB6_111:                              ;   in Loop: Header=BB6_106 Depth=3
	s_or_b64 exec, exec, s[52:53]
	v_cmp_ne_u32_e32 vcc, s40, v19
	s_or_b64 s[50:51], s[50:51], vcc
	s_and_saveexec_b64 s[52:53], s[50:51]
	s_xor_b64 s[50:51], exec, s[52:53]
	s_cbranch_execz .LBB6_114
; %bb.112:                              ;   in Loop: Header=BB6_106 Depth=3
	s_add_i32 s62, s62, 1
	s_cmp_ge_i32 s62, s15
	s_cbranch_scc1 .LBB6_114
; %bb.113:                              ;   in Loop: Header=BB6_106 Depth=3
	s_lshl_b64 s[52:53], s[44:45], 3
	s_and_b32 s52, s52, -16
	v_mov_b32_e32 v25, s53
	v_add_co_u32_e32 v24, vcc, s52, v16
	v_addc_co_u32_e32 v25, vcc, v17, v25, vcc
	global_load_dwordx4 v[24:27], v[24:25], off
	v_mov_b32_e32 v28, s61
	ds_read_b128 v[28:31], v28 offset:16
	s_waitcnt vmcnt(0) lgkmcnt(0)
	v_mul_f64 v[32:33], v[26:27], v[30:31]
	v_mul_f64 v[30:31], v[24:25], v[30:31]
	v_fma_f64 v[24:25], v[24:25], v[28:29], -v[32:33]
	v_fma_f64 v[26:27], v[26:27], v[28:29], v[30:31]
	v_add_f64 v[10:11], v[10:11], v[24:25]
	v_add_f64 v[8:9], v[8:9], v[26:27]
.LBB6_114:                              ;   in Loop: Header=BB6_106 Depth=3
	s_andn2_saveexec_b64 s[50:51], s[50:51]
	s_cbranch_execz .LBB6_116
; %bb.115:                              ;   in Loop: Header=BB6_106 Depth=3
	v_mov_b32_e32 v24, s61
	ds_read_b128 v[24:27], v24 offset:16
	s_waitcnt lgkmcnt(0)
	v_add_f64 v[10:11], v[10:11], v[24:25]
	v_add_f64 v[8:9], v[8:9], v[26:27]
.LBB6_116:                              ;   in Loop: Header=BB6_106 Depth=3
	s_or_b64 exec, exec, s[50:51]
	s_add_u32 s40, s40, 2
	s_addc_u32 s41, s41, 0
	s_add_i32 s61, s61, 32
	s_add_u32 s50, s48, -8
	s_addc_u32 s51, s49, -1
	s_add_u32 s44, s44, s48
	s_addc_u32 s45, s45, s49
	s_add_u32 s48, s46, -8
	v_add_co_u32_e32 v16, vcc, 0xffffffe0, v16
	s_addc_u32 s49, s47, -1
	v_addc_co_u32_e32 v17, vcc, -1, v17, vcc
	s_add_u32 s42, s42, s46
	v_add_co_u32_e32 v12, vcc, 0xffffffe0, v12
	s_addc_u32 s43, s43, s47
	s_cmpk_eq_i32 s40, 0x200
	v_addc_co_u32_e32 v13, vcc, -1, v13, vcc
	s_cbranch_scc1 .LBB6_102
; %bb.117:                              ;   in Loop: Header=BB6_106 Depth=3
	s_mov_b64 s[46:47], s[48:49]
	s_mov_b64 s[48:49], s[50:51]
	s_branch .LBB6_106
.LBB6_118:                              ;   in Loop: Header=BB6_87 Depth=1
	s_or_b64 exec, exec, s[34:35]
.LBB6_119:                              ;   in Loop: Header=BB6_87 Depth=1
	s_and_saveexec_b64 s[30:31], s[0:1]
	s_cbranch_execz .LBB6_86
; %bb.120:                              ;   in Loop: Header=BB6_87 Depth=1
	v_mad_u64_u32 v[6:7], s[0:1], s10, v23, 0
	v_mov_b32_e32 v2, v7
	v_mad_u64_u32 v[7:8], s[0:1], s11, v23, v[2:3]
	ds_read2_b64 v[2:5], v20 offset1:1
	v_mov_b32_e32 v8, s56
	v_lshlrev_b64 v[6:7], 4, v[6:7]
	v_add_co_u32_e32 v6, vcc, s55, v6
	v_addc_co_u32_e32 v7, vcc, v8, v7, vcc
	s_waitcnt lgkmcnt(0)
	global_store_dwordx4 v[6:7], v[2:5], off
	s_branch .LBB6_86
.LBB6_121:
	s_mov_b64 s[0:1], 0
.LBB6_122:
	s_andn2_b64 vcc, exec, s[0:1]
	s_cbranch_vccnz .LBB6_156
; %bb.123:
	s_andn2_b64 vcc, exec, s[6:7]
	s_cbranch_vccnz .LBB6_156
; %bb.124:
	v_mov_b32_e32 v1, 0x4000
	v_mov_b32_e32 v14, 0
	s_add_i32 s26, s15, 0xfffffe00
	v_lshl_or_b32 v20, v0, 4, v1
	s_mov_b32 s24, 0
	s_mov_b32 s25, s15
	v_mov_b32_e32 v1, v14
	v_mov_b32_e32 v21, s54
	s_xor_b64 s[4:5], s[12:13], -1
	s_branch .LBB6_126
.LBB6_125:                              ;   in Loop: Header=BB6_126 Depth=1
	s_or_b64 exec, exec, s[6:7]
	s_add_u32 s25, s25, 0xfffffe00
	s_addc_u32 s24, s24, -1
	s_and_b64 vcc, exec, s[2:3]
	s_mov_b32 s26, s27
	s_waitcnt vmcnt(0)
	s_barrier
	s_cbranch_vccnz .LBB6_156
.LBB6_126:                              ; =>This Loop Header: Depth=1
                                        ;     Child Loop BB6_130 Depth 2
                                        ;     Child Loop BB6_142 Depth 2
                                        ;       Child Loop BB6_145 Depth 3
	v_add_u32_e32 v15, s26, v0
	v_cmp_gt_i32_e32 vcc, 0, v15
	v_cmp_lt_i32_e64 s[0:1], -1, v15
	v_mov_b32_e32 v16, v14
	s_and_saveexec_b64 s[6:7], s[0:1]
	s_cbranch_execz .LBB6_128
; %bb.127:                              ;   in Loop: Header=BB6_126 Depth=1
	v_mad_u64_u32 v[2:3], s[2:3], s10, v15, 0
	v_mad_u64_u32 v[3:4], s[2:3], s11, v15, v[3:4]
	v_mov_b32_e32 v4, s56
	v_lshlrev_b64 v[2:3], 4, v[2:3]
	v_add_co_u32_e64 v2, s[2:3], s55, v2
	v_addc_co_u32_e64 v3, s[2:3], v4, v3, s[2:3]
	global_load_dwordx4 v[2:5], v[2:3], off
	s_waitcnt vmcnt(0)
	ds_write2_b64 v20, v[2:3], v[4:5] offset1:1
.LBB6_128:                              ;   in Loop: Header=BB6_126 Depth=1
	s_or_b64 exec, exec, s[6:7]
	v_add_u32_e32 v4, 1, v15
	v_mad_u64_u32 v[4:5], s[2:3], v15, v4, 0
	v_lshlrev_b64 v[6:7], 4, v[15:16]
	v_ashrrev_i32_e32 v3, 31, v15
	v_mov_b32_e32 v2, v15
	v_add_co_u32_e64 v6, s[2:3], s33, v6
	v_lshlrev_b64 v[2:3], 4, v[2:3]
	v_addc_co_u32_e64 v7, s[2:3], v21, v7, s[2:3]
	v_lshlrev_b64 v[4:5], 3, v[4:5]
	v_add_co_u32_e64 v18, s[2:3], s33, v2
	v_addc_co_u32_e64 v19, s[2:3], v21, v3, s[2:3]
	v_and_b32_e32 v2, -16, v4
	v_add_co_u32_e64 v16, s[2:3], v6, v2
	v_addc_co_u32_e64 v17, s[2:3], v7, v5, s[2:3]
	s_or_b64 s[2:3], s[12:13], vcc
	s_movk_i32 s14, 0x1ff
	s_movk_i32 s15, 0x5ff0
	s_xor_b64 s[6:7], s[2:3], -1
	s_waitcnt lgkmcnt(0)
	s_barrier
	s_branch .LBB6_130
.LBB6_129:                              ;   in Loop: Header=BB6_130 Depth=2
	s_or_b64 exec, exec, s[2:3]
	s_add_i32 s14, s14, -1
	s_add_i32 s15, s15, -16
	s_cmp_eq_u32 s14, -1
	s_cbranch_scc1 .LBB6_138
.LBB6_130:                              ;   Parent Loop BB6_126 Depth=1
                                        ; =>  This Inner Loop Header: Depth=2
	v_cmp_eq_u32_e32 vcc, s14, v0
	s_and_b64 s[8:9], vcc, s[6:7]
	s_and_saveexec_b64 s[2:3], s[8:9]
	s_cbranch_execz .LBB6_136
; %bb.131:                              ;   in Loop: Header=BB6_130 Depth=2
	global_load_dwordx4 v[6:9], v[16:17], off
	ds_read_b128 v[2:5], v20
                                        ; implicit-def: $vgpr10_vgpr11
	s_waitcnt vmcnt(0)
	v_cmp_ngt_f64_e64 s[8:9], |v[6:7]|, |v[8:9]|
	s_and_saveexec_b64 s[16:17], s[8:9]
	s_xor_b64 s[8:9], exec, s[16:17]
	s_cbranch_execz .LBB6_133
; %bb.132:                              ;   in Loop: Header=BB6_130 Depth=2
	v_div_scale_f64 v[10:11], s[16:17], v[8:9], v[8:9], v[6:7]
	v_rcp_f64_e32 v[12:13], v[10:11]
	v_fma_f64 v[22:23], -v[10:11], v[12:13], 1.0
	v_fma_f64 v[12:13], v[12:13], v[22:23], v[12:13]
	v_div_scale_f64 v[22:23], vcc, v[6:7], v[8:9], v[6:7]
	v_fma_f64 v[24:25], -v[10:11], v[12:13], 1.0
	v_fma_f64 v[12:13], v[12:13], v[24:25], v[12:13]
	v_mul_f64 v[24:25], v[22:23], v[12:13]
	v_fma_f64 v[10:11], -v[10:11], v[24:25], v[22:23]
	v_div_fmas_f64 v[10:11], v[10:11], v[12:13], v[24:25]
	v_div_fixup_f64 v[10:11], v[10:11], v[8:9], v[6:7]
	v_fma_f64 v[6:7], v[6:7], v[10:11], v[8:9]
	v_div_scale_f64 v[8:9], s[16:17], v[6:7], v[6:7], 1.0
	v_rcp_f64_e32 v[12:13], v[8:9]
	v_fma_f64 v[22:23], -v[8:9], v[12:13], 1.0
	v_fma_f64 v[12:13], v[12:13], v[22:23], v[12:13]
	v_div_scale_f64 v[22:23], vcc, 1.0, v[6:7], 1.0
	v_fma_f64 v[24:25], -v[8:9], v[12:13], 1.0
	v_fma_f64 v[12:13], v[12:13], v[24:25], v[12:13]
	v_mul_f64 v[24:25], v[22:23], v[12:13]
	v_fma_f64 v[8:9], -v[8:9], v[24:25], v[22:23]
	v_div_fmas_f64 v[8:9], v[8:9], v[12:13], v[24:25]
	s_waitcnt lgkmcnt(0)
	v_fma_f64 v[12:13], v[10:11], v[2:3], v[4:5]
	v_fma_f64 v[2:3], v[10:11], v[4:5], -v[2:3]
	v_div_fixup_f64 v[6:7], v[8:9], v[6:7], 1.0
	v_mul_f64 v[10:11], v[12:13], v[6:7]
	v_mul_f64 v[12:13], v[6:7], v[2:3]
                                        ; implicit-def: $vgpr6_vgpr7
                                        ; implicit-def: $vgpr4_vgpr5
.LBB6_133:                              ;   in Loop: Header=BB6_130 Depth=2
	s_andn2_saveexec_b64 s[8:9], s[8:9]
	s_cbranch_execz .LBB6_135
; %bb.134:                              ;   in Loop: Header=BB6_130 Depth=2
	v_div_scale_f64 v[10:11], s[16:17], v[6:7], v[6:7], v[8:9]
	v_rcp_f64_e32 v[12:13], v[10:11]
	v_fma_f64 v[22:23], -v[10:11], v[12:13], 1.0
	v_fma_f64 v[12:13], v[12:13], v[22:23], v[12:13]
	v_div_scale_f64 v[22:23], vcc, v[8:9], v[6:7], v[8:9]
	v_fma_f64 v[24:25], -v[10:11], v[12:13], 1.0
	v_fma_f64 v[12:13], v[12:13], v[24:25], v[12:13]
	v_mul_f64 v[24:25], v[22:23], v[12:13]
	v_fma_f64 v[10:11], -v[10:11], v[24:25], v[22:23]
	v_div_fmas_f64 v[10:11], v[10:11], v[12:13], v[24:25]
	v_div_fixup_f64 v[10:11], v[10:11], v[6:7], v[8:9]
	v_fma_f64 v[6:7], v[8:9], v[10:11], v[6:7]
	v_div_scale_f64 v[8:9], s[16:17], v[6:7], v[6:7], 1.0
	v_rcp_f64_e32 v[12:13], v[8:9]
	v_fma_f64 v[22:23], -v[8:9], v[12:13], 1.0
	v_fma_f64 v[12:13], v[12:13], v[22:23], v[12:13]
	v_div_scale_f64 v[22:23], vcc, 1.0, v[6:7], 1.0
	v_fma_f64 v[24:25], -v[8:9], v[12:13], 1.0
	v_fma_f64 v[12:13], v[12:13], v[24:25], v[12:13]
	v_mul_f64 v[24:25], v[22:23], v[12:13]
	v_fma_f64 v[8:9], -v[8:9], v[24:25], v[22:23]
	v_div_fmas_f64 v[8:9], v[8:9], v[12:13], v[24:25]
	s_waitcnt lgkmcnt(0)
	v_fma_f64 v[12:13], v[10:11], v[4:5], v[2:3]
	v_fma_f64 v[2:3], -v[10:11], v[2:3], v[4:5]
	v_div_fixup_f64 v[6:7], v[8:9], v[6:7], 1.0
	v_mul_f64 v[10:11], v[6:7], v[12:13]
	v_mul_f64 v[12:13], v[2:3], v[6:7]
.LBB6_135:                              ;   in Loop: Header=BB6_130 Depth=2
	s_or_b64 exec, exec, s[8:9]
	ds_write_b128 v20, v[10:13]
.LBB6_136:                              ;   in Loop: Header=BB6_130 Depth=2
	s_or_b64 exec, exec, s[2:3]
	s_add_i32 s9, s25, s14
	s_add_i32 s8, s9, 0xfffffe00
	s_waitcnt lgkmcnt(1)
	v_or_b32_e32 v2, s8, v15
	v_cmp_gt_u32_e32 vcc, s14, v0
	v_cmp_lt_i32_e64 s[2:3], -1, v2
	s_and_b64 s[16:17], vcc, s[2:3]
	s_waitcnt lgkmcnt(0)
	s_barrier
	s_and_saveexec_b64 s[2:3], s[16:17]
	s_cbranch_execz .LBB6_129
; %bb.137:                              ;   in Loop: Header=BB6_130 Depth=2
	s_add_i32 s16, s9, 0xfffffe01
	s_mul_hi_u32 s9, s16, s8
	s_mul_i32 s8, s16, s8
	s_lshl_b64 s[8:9], s[8:9], 3
	s_and_b32 s8, s8, -16
	v_mov_b32_e32 v3, s9
	v_add_co_u32_e32 v2, vcc, s8, v18
	v_addc_co_u32_e32 v3, vcc, v19, v3, vcc
	global_load_dwordx4 v[2:5], v[2:3], off
	v_mov_b32_e32 v6, s15
	ds_read_b128 v[6:9], v6
	s_waitcnt vmcnt(0) lgkmcnt(0)
	v_mul_f64 v[10:11], v[4:5], v[8:9]
	v_mul_f64 v[8:9], v[2:3], v[8:9]
	v_fma_f64 v[10:11], v[2:3], v[6:7], -v[10:11]
	v_fma_f64 v[6:7], v[4:5], v[6:7], v[8:9]
	ds_read_b128 v[2:5], v20
	s_waitcnt lgkmcnt(0)
	v_add_f64 v[2:3], v[2:3], -v[10:11]
	v_add_f64 v[4:5], v[4:5], -v[6:7]
	ds_write_b128 v20, v[2:5]
	s_branch .LBB6_129
.LBB6_138:                              ;   in Loop: Header=BB6_126 Depth=1
	s_add_i32 s27, s26, 0xfffffe00
	s_cmp_lt_i32 s26, 1
	s_cselect_b64 s[2:3], -1, 0
	s_and_b64 vcc, exec, s[2:3]
	s_waitcnt lgkmcnt(0)
	s_barrier
	s_cbranch_vccnz .LBB6_154
; %bb.139:                              ;   in Loop: Header=BB6_126 Depth=1
	v_mov_b32_e32 v11, v1
	s_mov_b64 s[6:7], 0
	v_mov_b32_e32 v10, v0
	s_mov_b32 s28, s27
                                        ; implicit-def: $sgpr8_sgpr9
	s_branch .LBB6_142
.LBB6_140:                              ;   in Loop: Header=BB6_142 Depth=2
	v_mad_u64_u32 v[2:3], s[16:17], s10, v13, 0
	s_add_i32 s18, s28, 0xfffffe00
	s_cmp_lt_i32 s28, 1
	v_mad_u64_u32 v[3:4], s[16:17], s11, v13, v[3:4]
	v_mov_b32_e32 v4, s56
	s_cselect_b64 s[16:17], -1, 0
	v_lshlrev_b64 v[2:3], 4, v[2:3]
	s_andn2_b64 s[8:9], s[8:9], exec
	v_add_co_u32_e32 v6, vcc, s55, v2
	v_addc_co_u32_e32 v7, vcc, v4, v3, vcc
	global_load_dwordx4 v[2:5], v[6:7], off
	v_add_co_u32_e32 v10, vcc, 0xfffffe00, v10
	s_and_b64 s[16:17], s[16:17], exec
	v_addc_co_u32_e32 v11, vcc, -1, v11, vcc
	s_or_b64 s[8:9], s[8:9], s[16:17]
	s_mov_b32 s28, s18
	s_waitcnt vmcnt(0)
	v_add_f64 v[2:3], v[2:3], -v[18:19]
	v_add_f64 v[4:5], v[4:5], -v[16:17]
	global_store_dwordx4 v[6:7], v[2:5], off
.LBB6_141:                              ;   in Loop: Header=BB6_142 Depth=2
	s_or_b64 exec, exec, s[14:15]
	s_and_b64 s[14:15], exec, s[8:9]
	s_or_b64 s[6:7], s[14:15], s[6:7]
	s_andn2_b64 exec, exec, s[6:7]
	s_cbranch_execz .LBB6_153
.LBB6_142:                              ;   Parent Loop BB6_126 Depth=1
                                        ; =>  This Loop Header: Depth=2
                                        ;       Child Loop BB6_145 Depth 3
	v_add_u32_e32 v13, s28, v0
	v_cmp_lt_i32_e32 vcc, -1, v13
	s_or_b64 s[8:9], s[8:9], exec
	s_and_saveexec_b64 s[14:15], vcc
	s_cbranch_execz .LBB6_141
; %bb.143:                              ;   in Loop: Header=BB6_142 Depth=2
	v_lshlrev_b64 v[2:3], 4, v[13:14]
	v_mov_b32_e32 v4, s54
	v_add_co_u32_e32 v12, vcc, s33, v2
	v_mov_b32_e32 v16, 0
	v_mov_b32_e32 v18, 0
	v_addc_co_u32_e32 v22, vcc, v4, v3, vcc
	v_add_co_u32_e32 v23, vcc, 0xfffffdff, v10
	v_add_co_u32_e32 v24, vcc, 0xfffffe00, v10
	v_mov_b32_e32 v17, 0
	s_movk_i32 s29, 0x4000
	v_mov_b32_e32 v19, 0
	s_mov_b64 s[16:17], 0
	s_branch .LBB6_145
.LBB6_144:                              ;   in Loop: Header=BB6_145 Depth=3
	s_or_b64 exec, exec, s[18:19]
	s_waitcnt lgkmcnt(0)
	v_add_f64 v[4:5], v[16:17], v[4:5]
	v_add_f64 v[2:3], v[18:19], v[2:3]
	s_add_i32 s29, s29, 32
	s_add_u32 s16, s16, 2
	s_addc_u32 s17, s17, 0
	s_cmpk_eq_i32 s16, 0x200
	v_add_f64 v[16:17], v[4:5], v[8:9]
	v_add_f64 v[18:19], v[2:3], v[6:7]
	s_cbranch_scc1 .LBB6_140
.LBB6_145:                              ;   Parent Loop BB6_126 Depth=1
                                        ;     Parent Loop BB6_142 Depth=2
                                        ; =>    This Inner Loop Header: Depth=3
	v_cmp_ne_u32_e32 vcc, s16, v24
	s_or_b64 s[22:23], s[4:5], vcc
                                        ; implicit-def: $vgpr4_vgpr5
                                        ; implicit-def: $sgpr18_sgpr19
                                        ; implicit-def: $sgpr20_sgpr21
	s_and_saveexec_b64 s[30:31], s[22:23]
	s_xor_b64 s[22:23], exec, s[30:31]
	s_cbranch_execz .LBB6_147
; %bb.146:                              ;   in Loop: Header=BB6_145 Depth=3
	s_add_u32 s18, s25, s16
	s_addc_u32 s19, s24, s17
	s_add_u32 s20, s18, 0xfffffe01
	s_addc_u32 s21, s19, 0
	;; [unrolled: 2-line block ×3, first 2 shown]
	s_mul_i32 s31, s20, s31
	s_mul_hi_u32 s34, s20, s30
	s_add_i32 s31, s34, s31
	s_mul_i32 s30, s20, s30
	s_lshl_b64 s[30:31], s[30:31], 3
	s_and_b32 s30, s30, -16
	v_mov_b32_e32 v3, s31
	v_add_co_u32_e32 v2, vcc, s30, v12
	v_addc_co_u32_e32 v3, vcc, v22, v3, vcc
	global_load_dwordx4 v[2:5], v[2:3], off
	v_mov_b32_e32 v6, s29
	ds_read_b128 v[6:9], v6
	s_waitcnt vmcnt(0) lgkmcnt(0)
	v_mul_f64 v[25:26], v[4:5], v[8:9]
	v_mul_f64 v[8:9], v[2:3], v[8:9]
	v_fma_f64 v[2:3], v[2:3], v[6:7], -v[25:26]
	v_fma_f64 v[4:5], v[4:5], v[6:7], v[8:9]
.LBB6_147:                              ;   in Loop: Header=BB6_145 Depth=3
	s_or_saveexec_b64 s[22:23], s[22:23]
	v_mov_b32_e32 v6, s20
	v_mov_b32_e32 v7, s21
	;; [unrolled: 1-line block ×4, first 2 shown]
	s_xor_b64 exec, exec, s[22:23]
	s_cbranch_execz .LBB6_149
; %bb.148:                              ;   in Loop: Header=BB6_145 Depth=3
	v_mov_b32_e32 v2, s29
	s_add_u32 s18, s25, s16
	ds_read_b128 v[2:5], v2
	s_addc_u32 s19, s24, s17
	s_add_u32 s20, s18, 0xfffffe01
	s_addc_u32 s21, s19, 0
	v_mov_b32_e32 v6, s20
	v_mov_b32_e32 v7, s21
	;; [unrolled: 1-line block ×4, first 2 shown]
.LBB6_149:                              ;   in Loop: Header=BB6_145 Depth=3
	s_or_b64 exec, exec, s[22:23]
	v_cmp_ne_u32_e32 vcc, s16, v23
	s_or_b64 s[18:19], s[4:5], vcc
                                        ; implicit-def: $vgpr8_vgpr9
	s_and_saveexec_b64 s[20:21], s[18:19]
	s_xor_b64 s[18:19], exec, s[20:21]
	s_cbranch_execz .LBB6_151
; %bb.150:                              ;   in Loop: Header=BB6_145 Depth=3
	v_add_u32_e32 v7, 0xfffffe02, v7
	v_mad_u64_u32 v[6:7], s[20:21], v7, v6, 0
	v_mov_b32_e32 v25, s29
	ds_read_b128 v[25:28], v25 offset:16
	v_lshlrev_b64 v[6:7], 3, v[6:7]
	v_and_b32_e32 v6, -16, v6
	v_add_co_u32_e32 v6, vcc, v12, v6
	v_addc_co_u32_e32 v7, vcc, v22, v7, vcc
	global_load_dwordx4 v[6:9], v[6:7], off
	s_waitcnt vmcnt(0) lgkmcnt(0)
	v_mul_f64 v[29:30], v[8:9], v[27:28]
	v_mul_f64 v[27:28], v[6:7], v[27:28]
	v_fma_f64 v[6:7], v[6:7], v[25:26], -v[29:30]
	v_fma_f64 v[8:9], v[8:9], v[25:26], v[27:28]
.LBB6_151:                              ;   in Loop: Header=BB6_145 Depth=3
	s_andn2_saveexec_b64 s[18:19], s[18:19]
	s_cbranch_execz .LBB6_144
; %bb.152:                              ;   in Loop: Header=BB6_145 Depth=3
	v_mov_b32_e32 v6, s29
	ds_read_b128 v[6:9], v6 offset:16
	s_branch .LBB6_144
.LBB6_153:                              ;   in Loop: Header=BB6_126 Depth=1
	s_or_b64 exec, exec, s[6:7]
.LBB6_154:                              ;   in Loop: Header=BB6_126 Depth=1
	s_and_saveexec_b64 s[6:7], s[0:1]
	s_cbranch_execz .LBB6_125
; %bb.155:                              ;   in Loop: Header=BB6_126 Depth=1
	v_mad_u64_u32 v[6:7], s[0:1], s10, v15, 0
	v_mov_b32_e32 v2, v7
	v_mad_u64_u32 v[7:8], s[0:1], s11, v15, v[2:3]
	ds_read2_b64 v[2:5], v20 offset1:1
	v_mov_b32_e32 v8, s56
	v_lshlrev_b64 v[6:7], 4, v[6:7]
	v_add_co_u32_e32 v6, vcc, s55, v6
	v_addc_co_u32_e32 v7, vcc, v8, v7, vcc
	s_waitcnt lgkmcnt(0)
	global_store_dwordx4 v[6:7], v[2:5], off
	s_branch .LBB6_125
.LBB6_156:
	s_endpgm
	.section	.rodata,"a",@progbits
	.p2align	6, 0x0
	.amdhsa_kernel _ZL19rocblas_tpsv_kernelILb1ELi512EPK19rocblas_complex_numIdEPS1_Ev18rocblas_operation_bbiT1_llT2_lll
		.amdhsa_group_segment_fixed_size 32768
		.amdhsa_private_segment_fixed_size 0
		.amdhsa_kernarg_size 72
		.amdhsa_user_sgpr_count 6
		.amdhsa_user_sgpr_private_segment_buffer 1
		.amdhsa_user_sgpr_dispatch_ptr 0
		.amdhsa_user_sgpr_queue_ptr 0
		.amdhsa_user_sgpr_kernarg_segment_ptr 1
		.amdhsa_user_sgpr_dispatch_id 0
		.amdhsa_user_sgpr_flat_scratch_init 0
		.amdhsa_user_sgpr_private_segment_size 0
		.amdhsa_uses_dynamic_stack 0
		.amdhsa_system_sgpr_private_segment_wavefront_offset 0
		.amdhsa_system_sgpr_workgroup_id_x 1
		.amdhsa_system_sgpr_workgroup_id_y 0
		.amdhsa_system_sgpr_workgroup_id_z 0
		.amdhsa_system_sgpr_workgroup_info 0
		.amdhsa_system_vgpr_workitem_id 0
		.amdhsa_next_free_vgpr 49
		.amdhsa_next_free_sgpr 98
		.amdhsa_reserve_vcc 1
		.amdhsa_reserve_flat_scratch 0
		.amdhsa_float_round_mode_32 0
		.amdhsa_float_round_mode_16_64 0
		.amdhsa_float_denorm_mode_32 3
		.amdhsa_float_denorm_mode_16_64 3
		.amdhsa_dx10_clamp 1
		.amdhsa_ieee_mode 1
		.amdhsa_fp16_overflow 0
		.amdhsa_exception_fp_ieee_invalid_op 0
		.amdhsa_exception_fp_denorm_src 0
		.amdhsa_exception_fp_ieee_div_zero 0
		.amdhsa_exception_fp_ieee_overflow 0
		.amdhsa_exception_fp_ieee_underflow 0
		.amdhsa_exception_fp_ieee_inexact 0
		.amdhsa_exception_int_div_zero 0
	.end_amdhsa_kernel
	.section	.text._ZL19rocblas_tpsv_kernelILb1ELi512EPK19rocblas_complex_numIdEPS1_Ev18rocblas_operation_bbiT1_llT2_lll,"axG",@progbits,_ZL19rocblas_tpsv_kernelILb1ELi512EPK19rocblas_complex_numIdEPS1_Ev18rocblas_operation_bbiT1_llT2_lll,comdat
.Lfunc_end6:
	.size	_ZL19rocblas_tpsv_kernelILb1ELi512EPK19rocblas_complex_numIdEPS1_Ev18rocblas_operation_bbiT1_llT2_lll, .Lfunc_end6-_ZL19rocblas_tpsv_kernelILb1ELi512EPK19rocblas_complex_numIdEPS1_Ev18rocblas_operation_bbiT1_llT2_lll
                                        ; -- End function
	.set _ZL19rocblas_tpsv_kernelILb1ELi512EPK19rocblas_complex_numIdEPS1_Ev18rocblas_operation_bbiT1_llT2_lll.num_vgpr, 44
	.set _ZL19rocblas_tpsv_kernelILb1ELi512EPK19rocblas_complex_numIdEPS1_Ev18rocblas_operation_bbiT1_llT2_lll.num_agpr, 0
	.set _ZL19rocblas_tpsv_kernelILb1ELi512EPK19rocblas_complex_numIdEPS1_Ev18rocblas_operation_bbiT1_llT2_lll.numbered_sgpr, 66
	.set _ZL19rocblas_tpsv_kernelILb1ELi512EPK19rocblas_complex_numIdEPS1_Ev18rocblas_operation_bbiT1_llT2_lll.num_named_barrier, 0
	.set _ZL19rocblas_tpsv_kernelILb1ELi512EPK19rocblas_complex_numIdEPS1_Ev18rocblas_operation_bbiT1_llT2_lll.private_seg_size, 0
	.set _ZL19rocblas_tpsv_kernelILb1ELi512EPK19rocblas_complex_numIdEPS1_Ev18rocblas_operation_bbiT1_llT2_lll.uses_vcc, 1
	.set _ZL19rocblas_tpsv_kernelILb1ELi512EPK19rocblas_complex_numIdEPS1_Ev18rocblas_operation_bbiT1_llT2_lll.uses_flat_scratch, 0
	.set _ZL19rocblas_tpsv_kernelILb1ELi512EPK19rocblas_complex_numIdEPS1_Ev18rocblas_operation_bbiT1_llT2_lll.has_dyn_sized_stack, 0
	.set _ZL19rocblas_tpsv_kernelILb1ELi512EPK19rocblas_complex_numIdEPS1_Ev18rocblas_operation_bbiT1_llT2_lll.has_recursion, 0
	.set _ZL19rocblas_tpsv_kernelILb1ELi512EPK19rocblas_complex_numIdEPS1_Ev18rocblas_operation_bbiT1_llT2_lll.has_indirect_call, 0
	.section	.AMDGPU.csdata,"",@progbits
; Kernel info:
; codeLenInByte = 7944
; TotalNumSgprs: 70
; NumVgprs: 44
; ScratchSize: 0
; MemoryBound: 0
; FloatMode: 240
; IeeeMode: 1
; LDSByteSize: 32768 bytes/workgroup (compile time only)
; SGPRBlocks: 12
; VGPRBlocks: 12
; NumSGPRsForWavesPerEU: 102
; NumVGPRsForWavesPerEU: 49
; Occupancy: 4
; WaveLimiterHint : 0
; COMPUTE_PGM_RSRC2:SCRATCH_EN: 0
; COMPUTE_PGM_RSRC2:USER_SGPR: 6
; COMPUTE_PGM_RSRC2:TRAP_HANDLER: 0
; COMPUTE_PGM_RSRC2:TGID_X_EN: 1
; COMPUTE_PGM_RSRC2:TGID_Y_EN: 0
; COMPUTE_PGM_RSRC2:TGID_Z_EN: 0
; COMPUTE_PGM_RSRC2:TIDIG_COMP_CNT: 0
	.section	.text._ZL19rocblas_tpsv_kernelILb0ELi512EPK19rocblas_complex_numIdEPS1_Ev18rocblas_operation_bbiT1_llT2_lll,"axG",@progbits,_ZL19rocblas_tpsv_kernelILb0ELi512EPK19rocblas_complex_numIdEPS1_Ev18rocblas_operation_bbiT1_llT2_lll,comdat
	.globl	_ZL19rocblas_tpsv_kernelILb0ELi512EPK19rocblas_complex_numIdEPS1_Ev18rocblas_operation_bbiT1_llT2_lll ; -- Begin function _ZL19rocblas_tpsv_kernelILb0ELi512EPK19rocblas_complex_numIdEPS1_Ev18rocblas_operation_bbiT1_llT2_lll
	.p2align	8
	.type	_ZL19rocblas_tpsv_kernelILb0ELi512EPK19rocblas_complex_numIdEPS1_Ev18rocblas_operation_bbiT1_llT2_lll,@function
_ZL19rocblas_tpsv_kernelILb0ELi512EPK19rocblas_complex_numIdEPS1_Ev18rocblas_operation_bbiT1_llT2_lll: ; @_ZL19rocblas_tpsv_kernelILb0ELi512EPK19rocblas_complex_numIdEPS1_Ev18rocblas_operation_bbiT1_llT2_lll
; %bb.0:
	s_load_dwordx2 s[26:27], s[4:5], 0x0
	s_load_dwordx2 s[16:17], s[4:5], 0x4
	;; [unrolled: 1-line block ×3, first 2 shown]
	s_load_dwordx4 s[0:3], s[4:5], 0x18
	s_load_dwordx2 s[28:29], s[4:5], 0x28
	s_waitcnt lgkmcnt(0)
	s_bitcmp1_b32 s27, 0
	s_cselect_b64 s[8:9], -1, 0
	s_xor_b64 s[22:23], s[8:9], -1
	s_bitcmp1_b32 s16, 8
	s_load_dwordx4 s[8:11], s[4:5], 0x30
	s_load_dwordx2 s[30:31], s[4:5], 0x40
	s_mul_i32 s3, s3, s6
	s_mul_hi_u32 s4, s2, s6
	s_cselect_b64 s[12:13], -1, 0
	s_add_i32 s3, s4, s3
	s_mul_i32 s2, s2, s6
	s_lshl_b64 s[20:21], s[2:3], 4
	s_add_u32 s2, s18, s20
	s_addc_u32 s3, s19, s21
	s_lshl_b64 s[24:25], s[0:1], 4
	s_add_u32 s14, s2, s24
	s_waitcnt lgkmcnt(0)
	s_mul_i32 s0, s31, s6
	s_mul_hi_u32 s1, s30, s6
	s_addc_u32 s15, s3, s25
	s_add_i32 s1, s1, s0
	s_mul_i32 s0, s30, s6
	s_lshl_b64 s[0:1], s[0:1], 4
	s_add_u32 s2, s28, s0
	s_addc_u32 s3, s29, s1
	s_lshl_b64 s[0:1], s[8:9], 4
	s_add_u32 s33, s2, s0
	s_addc_u32 s56, s3, s1
	s_cmp_gt_i32 s17, 0
	s_cselect_b64 s[6:7], -1, 0
	s_cmpk_lg_i32 s26, 0x6f
	s_mov_b64 s[0:1], -1
	s_cbranch_scc0 .LBB7_82
; %bb.1:
	s_and_b64 vcc, exec, s[22:23]
	s_cbranch_vccz .LBB7_44
; %bb.2:
	s_andn2_b64 vcc, exec, s[6:7]
	s_cbranch_vccnz .LBB7_43
; %bb.3:
	s_lshl_b32 s2, s17, 1
	s_add_i32 s34, s17, 0xfffffe00
	s_or_b32 s16, s2, 1
	s_add_u32 s3, s20, s24
	s_addc_u32 s4, s21, s25
	s_ashr_i32 s1, s17, 31
	s_mov_b32 s0, s17
	s_lshl_b64 s[0:1], s[0:1], 4
	s_add_u32 s0, s3, s0
	s_addc_u32 s1, s4, s1
	s_add_u32 s0, s18, s0
	v_mov_b32_e32 v1, 0x2000
	s_addc_u32 s1, s19, s1
	v_lshl_or_b32 v26, v0, 4, v1
	s_add_u32 s4, s0, 0xffffe020
	v_add_u32_e32 v1, s17, v0
	v_sub_u32_e32 v27, 0, v0
	s_addc_u32 s5, s1, -1
	v_add_u32_e32 v28, 0xfffffc00, v1
	s_ashr_i32 s36, s2, 31
	v_mov_b32_e32 v17, 0
	v_mov_b32_e32 v29, s15
	s_movk_i32 s37, 0x400
	s_movk_i32 s38, 0x401
	;; [unrolled: 1-line block ×4, first 2 shown]
	s_xor_b64 s[8:9], s[12:13], -1
	s_movk_i32 s41, 0x2000
	s_branch .LBB7_5
.LBB7_4:                                ;   in Loop: Header=BB7_5 Depth=1
	s_or_b64 exec, exec, s[26:27]
	s_add_u32 s4, s4, 0xffffe000
	s_addc_u32 s5, s5, -1
	v_add_u32_e32 v28, 0xfffffe00, v28
	s_andn2_b64 vcc, exec, s[2:3]
	s_mov_b32 s34, s42
	s_waitcnt vmcnt(0)
	s_barrier
	s_cbranch_vccz .LBB7_43
.LBB7_5:                                ; =>This Loop Header: Depth=1
                                        ;     Child Loop BB7_9 Depth 2
                                        ;     Child Loop BB7_21 Depth 2
                                        ;       Child Loop BB7_24 Depth 3
	v_add_u32_e32 v30, s34, v0
	v_cmp_gt_i32_e64 s[2:3], 0, v30
	v_cmp_lt_i32_e64 s[0:1], -1, v30
	s_and_saveexec_b64 s[26:27], s[0:1]
	s_cbranch_execz .LBB7_7
; %bb.6:                                ;   in Loop: Header=BB7_5 Depth=1
	v_mad_u64_u32 v[1:2], s[28:29], s10, v30, 0
	v_mad_u64_u32 v[2:3], s[28:29], s11, v30, v[2:3]
	v_mov_b32_e32 v3, s56
	v_lshlrev_b64 v[1:2], 4, v[1:2]
	v_add_co_u32_e32 v1, vcc, s33, v1
	v_addc_co_u32_e32 v2, vcc, v3, v2, vcc
	global_load_dwordx4 v[1:4], v[1:2], off
	s_waitcnt vmcnt(0)
	ds_write2_b64 v26, v[1:2], v[3:4] offset1:1
.LBB7_7:                                ;   in Loop: Header=BB7_5 Depth=1
	s_or_b64 exec, exec, s[26:27]
	v_sub_u32_e32 v3, s16, v30
	v_mad_u64_u32 v[1:2], s[26:27], v30, v3, 0
	v_ashrrev_i32_e32 v3, 31, v3
	s_not_b32 s35, s34
	v_mad_u64_u32 v[2:3], s[26:27], v30, v3, v[2:3]
	s_or_b64 s[26:27], s[12:13], s[2:3]
	s_movk_i32 s42, 0x1ff
	v_lshlrev_b64 v[1:2], 3, v[1:2]
	s_movk_i32 s43, 0x3ff0
	v_and_b32_e32 v1, -16, v1
	v_add_co_u32_e32 v13, vcc, s14, v1
	v_addc_co_u32_e32 v14, vcc, v29, v2, vcc
	s_xor_b64 s[26:27], s[26:27], -1
	s_waitcnt lgkmcnt(0)
	s_barrier
	s_branch .LBB7_9
.LBB7_8:                                ;   in Loop: Header=BB7_9 Depth=2
	s_or_b64 exec, exec, s[28:29]
	s_add_i32 s42, s42, -1
	s_add_i32 s43, s43, -16
	s_cmp_eq_u32 s42, -1
	s_cbranch_scc1 .LBB7_17
.LBB7_9:                                ;   Parent Loop BB7_5 Depth=1
                                        ; =>  This Inner Loop Header: Depth=2
	v_add_u32_e32 v16, s42, v27
	v_cmp_eq_u32_e32 vcc, 0, v16
	s_and_b64 s[30:31], vcc, s[26:27]
	s_and_saveexec_b64 s[28:29], s[30:31]
	s_cbranch_execz .LBB7_15
; %bb.10:                               ;   in Loop: Header=BB7_9 Depth=2
	global_load_dwordx4 v[5:8], v[13:14], off
	ds_read_b128 v[1:4], v26
                                        ; implicit-def: $vgpr9_vgpr10
	s_waitcnt vmcnt(0)
	v_cmp_ngt_f64_e64 s[30:31], |v[5:6]|, |v[7:8]|
	s_and_saveexec_b64 s[44:45], s[30:31]
	s_xor_b64 s[30:31], exec, s[44:45]
	s_cbranch_execz .LBB7_12
; %bb.11:                               ;   in Loop: Header=BB7_9 Depth=2
	v_div_scale_f64 v[9:10], s[44:45], v[7:8], v[7:8], v[5:6]
	v_rcp_f64_e32 v[11:12], v[9:10]
	v_fma_f64 v[18:19], -v[9:10], v[11:12], 1.0
	v_fma_f64 v[11:12], v[11:12], v[18:19], v[11:12]
	v_div_scale_f64 v[18:19], vcc, v[5:6], v[7:8], v[5:6]
	v_fma_f64 v[20:21], -v[9:10], v[11:12], 1.0
	v_fma_f64 v[11:12], v[11:12], v[20:21], v[11:12]
	v_mul_f64 v[20:21], v[18:19], v[11:12]
	v_fma_f64 v[9:10], -v[9:10], v[20:21], v[18:19]
	v_div_fmas_f64 v[9:10], v[9:10], v[11:12], v[20:21]
	v_div_fixup_f64 v[9:10], v[9:10], v[7:8], v[5:6]
	v_fma_f64 v[5:6], v[5:6], v[9:10], v[7:8]
	v_div_scale_f64 v[7:8], s[44:45], v[5:6], v[5:6], 1.0
	v_rcp_f64_e32 v[11:12], v[7:8]
	v_fma_f64 v[18:19], -v[7:8], v[11:12], 1.0
	v_fma_f64 v[11:12], v[11:12], v[18:19], v[11:12]
	v_div_scale_f64 v[18:19], vcc, 1.0, v[5:6], 1.0
	v_fma_f64 v[20:21], -v[7:8], v[11:12], 1.0
	v_fma_f64 v[11:12], v[11:12], v[20:21], v[11:12]
	v_mul_f64 v[20:21], v[18:19], v[11:12]
	v_fma_f64 v[7:8], -v[7:8], v[20:21], v[18:19]
	v_div_fmas_f64 v[7:8], v[7:8], v[11:12], v[20:21]
	s_waitcnt lgkmcnt(0)
	v_fma_f64 v[11:12], v[9:10], v[1:2], v[3:4]
	v_fma_f64 v[1:2], v[9:10], v[3:4], -v[1:2]
	v_div_fixup_f64 v[5:6], v[7:8], v[5:6], 1.0
	v_mul_f64 v[9:10], v[11:12], v[5:6]
	v_mul_f64 v[11:12], v[5:6], v[1:2]
                                        ; implicit-def: $vgpr5_vgpr6
                                        ; implicit-def: $vgpr3_vgpr4
.LBB7_12:                               ;   in Loop: Header=BB7_9 Depth=2
	s_andn2_saveexec_b64 s[30:31], s[30:31]
	s_cbranch_execz .LBB7_14
; %bb.13:                               ;   in Loop: Header=BB7_9 Depth=2
	v_div_scale_f64 v[9:10], s[44:45], v[5:6], v[5:6], v[7:8]
	v_rcp_f64_e32 v[11:12], v[9:10]
	v_fma_f64 v[18:19], -v[9:10], v[11:12], 1.0
	v_fma_f64 v[11:12], v[11:12], v[18:19], v[11:12]
	v_div_scale_f64 v[18:19], vcc, v[7:8], v[5:6], v[7:8]
	v_fma_f64 v[20:21], -v[9:10], v[11:12], 1.0
	v_fma_f64 v[11:12], v[11:12], v[20:21], v[11:12]
	v_mul_f64 v[20:21], v[18:19], v[11:12]
	v_fma_f64 v[9:10], -v[9:10], v[20:21], v[18:19]
	v_div_fmas_f64 v[9:10], v[9:10], v[11:12], v[20:21]
	v_div_fixup_f64 v[9:10], v[9:10], v[5:6], v[7:8]
	v_fma_f64 v[5:6], v[7:8], v[9:10], v[5:6]
	v_div_scale_f64 v[7:8], s[44:45], v[5:6], v[5:6], 1.0
	v_rcp_f64_e32 v[11:12], v[7:8]
	v_fma_f64 v[18:19], -v[7:8], v[11:12], 1.0
	v_fma_f64 v[11:12], v[11:12], v[18:19], v[11:12]
	v_div_scale_f64 v[18:19], vcc, 1.0, v[5:6], 1.0
	v_fma_f64 v[20:21], -v[7:8], v[11:12], 1.0
	v_fma_f64 v[11:12], v[11:12], v[20:21], v[11:12]
	v_mul_f64 v[20:21], v[18:19], v[11:12]
	v_fma_f64 v[7:8], -v[7:8], v[20:21], v[18:19]
	v_div_fmas_f64 v[7:8], v[7:8], v[11:12], v[20:21]
	s_waitcnt lgkmcnt(0)
	v_fma_f64 v[11:12], v[9:10], v[3:4], v[1:2]
	v_fma_f64 v[1:2], -v[9:10], v[1:2], v[3:4]
	v_div_fixup_f64 v[5:6], v[7:8], v[5:6], 1.0
	v_mul_f64 v[9:10], v[5:6], v[11:12]
	v_mul_f64 v[11:12], v[1:2], v[5:6]
.LBB7_14:                               ;   in Loop: Header=BB7_9 Depth=2
	s_or_b64 exec, exec, s[30:31]
	ds_write_b128 v26, v[9:12]
.LBB7_15:                               ;   in Loop: Header=BB7_9 Depth=2
	s_or_b64 exec, exec, s[28:29]
	s_cmp_le_i32 s42, s35
	v_cmp_le_u32_e32 vcc, s42, v0
	s_cselect_b64 s[28:29], -1, 0
	s_or_b64 s[28:29], vcc, s[28:29]
	s_nor_b64 s[30:31], s[2:3], s[28:29]
	s_waitcnt lgkmcnt(0)
	s_barrier
	s_and_saveexec_b64 s[28:29], s[30:31]
	s_cbranch_execz .LBB7_8
; %bb.16:                               ;   in Loop: Header=BB7_9 Depth=2
	v_lshlrev_b64 v[1:2], 4, v[16:17]
	v_mov_b32_e32 v5, s43
	v_add_co_u32_e32 v1, vcc, v13, v1
	v_addc_co_u32_e32 v2, vcc, v14, v2, vcc
	global_load_dwordx4 v[1:4], v[1:2], off
	ds_read_b128 v[5:8], v5
	s_waitcnt vmcnt(0) lgkmcnt(0)
	v_mul_f64 v[9:10], v[3:4], v[7:8]
	v_mul_f64 v[7:8], v[1:2], v[7:8]
	v_fma_f64 v[9:10], v[1:2], v[5:6], -v[9:10]
	v_fma_f64 v[5:6], v[3:4], v[5:6], v[7:8]
	ds_read_b128 v[1:4], v26
	s_waitcnt lgkmcnt(0)
	v_add_f64 v[1:2], v[1:2], -v[9:10]
	v_add_f64 v[3:4], v[3:4], -v[5:6]
	ds_write_b128 v26, v[1:4]
	s_branch .LBB7_8
.LBB7_17:                               ;   in Loop: Header=BB7_5 Depth=1
	s_add_i32 s42, s34, 0xfffffe00
	s_cmp_lt_i32 s34, 1
	s_cselect_b64 s[2:3], -1, 0
	s_and_b64 vcc, exec, s[2:3]
	s_waitcnt lgkmcnt(0)
	s_barrier
	s_cbranch_vccnz .LBB7_41
; %bb.18:                               ;   in Loop: Header=BB7_5 Depth=1
	v_mad_i64_i32 v[18:19], s[26:27], v28, -16, s[4:5]
	v_ashrrev_i32_e32 v1, 31, v28
	v_mov_b32_e32 v2, s36
	v_sub_co_u32_e32 v31, vcc, s16, v28
	v_subb_co_u32_e32 v32, vcc, v2, v1, vcc
	s_mov_b64 s[26:27], 0
	v_mov_b32_e32 v33, v28
	v_mov_b32_e32 v34, v0
	s_mov_b32 s43, s42
                                        ; implicit-def: $sgpr28_sgpr29
	s_branch .LBB7_21
.LBB7_19:                               ;   in Loop: Header=BB7_21 Depth=2
	v_mad_u64_u32 v[1:2], s[34:35], s10, v35, 0
	s_add_i32 s44, s43, 0xfffffe00
	s_cmp_lt_i32 s43, 1
	v_mad_u64_u32 v[2:3], s[34:35], s11, v35, v[2:3]
	v_mov_b32_e32 v3, s56
	s_cselect_b64 s[34:35], -1, 0
	v_lshlrev_b64 v[1:2], 4, v[1:2]
	s_andn2_b64 s[28:29], s[28:29], exec
	v_add_co_u32_e32 v5, vcc, s33, v1
	v_addc_co_u32_e32 v6, vcc, v3, v2, vcc
	global_load_dwordx4 v[1:4], v[5:6], off
	v_add_co_u32_e32 v18, vcc, s41, v18
	v_addc_co_u32_e32 v19, vcc, 0, v19, vcc
	v_add_co_u32_e32 v31, vcc, 0x200, v31
	s_and_b64 s[34:35], s[34:35], exec
	v_add_u32_e32 v34, 0xfffffe00, v34
	v_add_u32_e32 v33, 0xfffffe00, v33
	v_addc_co_u32_e32 v32, vcc, 0, v32, vcc
	s_or_b64 s[28:29], s[28:29], s[34:35]
	s_mov_b32 s43, s44
	s_waitcnt vmcnt(0)
	v_add_f64 v[1:2], v[1:2], -v[22:23]
	v_add_f64 v[3:4], v[3:4], -v[20:21]
	global_store_dwordx4 v[5:6], v[1:4], off
.LBB7_20:                               ;   in Loop: Header=BB7_21 Depth=2
	s_or_b64 exec, exec, s[30:31]
	s_and_b64 s[30:31], exec, s[28:29]
	s_or_b64 s[26:27], s[30:31], s[26:27]
	s_andn2_b64 exec, exec, s[26:27]
	s_cbranch_execz .LBB7_40
.LBB7_21:                               ;   Parent Loop BB7_5 Depth=1
                                        ; =>  This Loop Header: Depth=2
                                        ;       Child Loop BB7_24 Depth 3
	v_add_u32_e32 v35, s43, v0
	v_cmp_lt_i32_e32 vcc, -1, v35
	s_or_b64 s[28:29], s[28:29], exec
	s_and_saveexec_b64 s[30:31], vcc
	s_cbranch_execz .LBB7_20
; %bb.22:                               ;   in Loop: Header=BB7_21 Depth=2
	v_mad_u64_u32 v[1:2], s[34:35], v31, v33, 0
	v_mov_b32_e32 v20, 0
	v_mov_b32_e32 v22, 0
	v_mad_u64_u32 v[2:3], s[34:35], v32, v33, v[2:3]
	v_mov_b32_e32 v21, 0
	s_movk_i32 s44, 0x2000
	v_lshlrev_b64 v[1:2], 3, v[1:2]
	v_mov_b32_e32 v23, 0
	v_and_b32_e32 v1, -16, v1
	v_add_co_u32_e32 v24, vcc, v18, v1
	v_addc_co_u32_e32 v25, vcc, v19, v2, vcc
	s_movk_i32 s45, 0x200
	s_branch .LBB7_24
.LBB7_23:                               ;   in Loop: Header=BB7_24 Depth=3
	s_or_b64 exec, exec, s[34:35]
	s_waitcnt lgkmcnt(0)
	v_add_f64 v[3:4], v[20:21], v[3:4]
	v_add_f64 v[1:2], v[22:23], v[1:2]
	s_add_i32 s44, s44, 64
	s_add_i32 s45, s45, -4
	v_add_co_u32_e32 v24, vcc, 64, v24
	s_cmp_eq_u32 s45, 0
	v_addc_co_u32_e32 v25, vcc, 0, v25, vcc
	v_add_f64 v[3:4], v[3:4], v[7:8]
	v_add_f64 v[1:2], v[1:2], v[5:6]
	;; [unrolled: 1-line block ×6, first 2 shown]
	s_cbranch_scc1 .LBB7_19
.LBB7_24:                               ;   Parent Loop BB7_5 Depth=1
                                        ;     Parent Loop BB7_21 Depth=2
                                        ; =>    This Inner Loop Header: Depth=3
	v_add_u32_e32 v13, s45, v34
	v_cmp_ne_u32_e32 vcc, s37, v13
	s_or_b64 s[34:35], s[8:9], vcc
                                        ; implicit-def: $vgpr3_vgpr4
	s_and_saveexec_b64 s[46:47], s[34:35]
	s_xor_b64 s[34:35], exec, s[46:47]
	s_cbranch_execz .LBB7_26
; %bb.25:                               ;   in Loop: Header=BB7_24 Depth=3
	global_load_dwordx4 v[1:4], v[24:25], off offset:-32
	v_mov_b32_e32 v5, s44
	ds_read_b128 v[5:8], v5
	s_waitcnt vmcnt(0) lgkmcnt(0)
	v_mul_f64 v[9:10], v[3:4], v[7:8]
	v_mul_f64 v[7:8], v[1:2], v[7:8]
	v_fma_f64 v[1:2], v[1:2], v[5:6], -v[9:10]
	v_fma_f64 v[3:4], v[3:4], v[5:6], v[7:8]
.LBB7_26:                               ;   in Loop: Header=BB7_24 Depth=3
	s_andn2_saveexec_b64 s[34:35], s[34:35]
; %bb.27:                               ;   in Loop: Header=BB7_24 Depth=3
	v_mov_b32_e32 v1, s44
	ds_read_b128 v[1:4], v1
; %bb.28:                               ;   in Loop: Header=BB7_24 Depth=3
	s_or_b64 exec, exec, s[34:35]
	v_cmp_ne_u32_e32 vcc, s38, v13
	s_or_b64 s[34:35], s[8:9], vcc
                                        ; implicit-def: $vgpr7_vgpr8
	s_and_saveexec_b64 s[46:47], s[34:35]
	s_xor_b64 s[34:35], exec, s[46:47]
	s_cbranch_execz .LBB7_30
; %bb.29:                               ;   in Loop: Header=BB7_24 Depth=3
	global_load_dwordx4 v[5:8], v[24:25], off offset:-16
	v_mov_b32_e32 v9, s44
	ds_read_b128 v[9:12], v9 offset:16
	s_waitcnt vmcnt(0) lgkmcnt(0)
	v_mul_f64 v[14:15], v[7:8], v[11:12]
	v_mul_f64 v[11:12], v[5:6], v[11:12]
	v_fma_f64 v[5:6], v[5:6], v[9:10], -v[14:15]
	v_fma_f64 v[7:8], v[7:8], v[9:10], v[11:12]
.LBB7_30:                               ;   in Loop: Header=BB7_24 Depth=3
	s_andn2_saveexec_b64 s[34:35], s[34:35]
; %bb.31:                               ;   in Loop: Header=BB7_24 Depth=3
	v_mov_b32_e32 v5, s44
	ds_read_b128 v[5:8], v5 offset:16
; %bb.32:                               ;   in Loop: Header=BB7_24 Depth=3
	s_or_b64 exec, exec, s[34:35]
	v_cmp_ne_u32_e32 vcc, s39, v13
	s_or_b64 s[34:35], s[8:9], vcc
                                        ; implicit-def: $vgpr11_vgpr12
	s_and_saveexec_b64 s[46:47], s[34:35]
	s_xor_b64 s[34:35], exec, s[46:47]
	s_cbranch_execz .LBB7_34
; %bb.33:                               ;   in Loop: Header=BB7_24 Depth=3
	global_load_dwordx4 v[9:12], v[24:25], off
	v_mov_b32_e32 v14, s44
	ds_read_b128 v[36:39], v14 offset:32
	s_waitcnt vmcnt(0) lgkmcnt(0)
	v_mul_f64 v[14:15], v[11:12], v[38:39]
	v_mul_f64 v[38:39], v[9:10], v[38:39]
	v_fma_f64 v[9:10], v[9:10], v[36:37], -v[14:15]
	v_fma_f64 v[11:12], v[11:12], v[36:37], v[38:39]
.LBB7_34:                               ;   in Loop: Header=BB7_24 Depth=3
	s_andn2_saveexec_b64 s[34:35], s[34:35]
; %bb.35:                               ;   in Loop: Header=BB7_24 Depth=3
	v_mov_b32_e32 v9, s44
	ds_read_b128 v[9:12], v9 offset:32
; %bb.36:                               ;   in Loop: Header=BB7_24 Depth=3
	s_or_b64 exec, exec, s[34:35]
	v_cmp_ne_u32_e32 vcc, s40, v13
	s_or_b64 s[34:35], s[8:9], vcc
                                        ; implicit-def: $vgpr15_vgpr16
	s_and_saveexec_b64 s[46:47], s[34:35]
	s_xor_b64 s[34:35], exec, s[46:47]
	s_cbranch_execz .LBB7_38
; %bb.37:                               ;   in Loop: Header=BB7_24 Depth=3
	global_load_dwordx4 v[13:16], v[24:25], off offset:16
	v_mov_b32_e32 v36, s44
	ds_read_b128 v[36:39], v36 offset:48
	s_waitcnt vmcnt(0) lgkmcnt(0)
	v_mul_f64 v[40:41], v[15:16], v[38:39]
	v_mul_f64 v[38:39], v[13:14], v[38:39]
	v_fma_f64 v[13:14], v[13:14], v[36:37], -v[40:41]
	v_fma_f64 v[15:16], v[15:16], v[36:37], v[38:39]
.LBB7_38:                               ;   in Loop: Header=BB7_24 Depth=3
	s_andn2_saveexec_b64 s[34:35], s[34:35]
	s_cbranch_execz .LBB7_23
; %bb.39:                               ;   in Loop: Header=BB7_24 Depth=3
	v_mov_b32_e32 v13, s44
	ds_read_b128 v[13:16], v13 offset:48
	s_branch .LBB7_23
.LBB7_40:                               ;   in Loop: Header=BB7_5 Depth=1
	s_or_b64 exec, exec, s[26:27]
.LBB7_41:                               ;   in Loop: Header=BB7_5 Depth=1
	s_and_saveexec_b64 s[26:27], s[0:1]
	s_cbranch_execz .LBB7_4
; %bb.42:                               ;   in Loop: Header=BB7_5 Depth=1
	v_mad_u64_u32 v[5:6], s[0:1], s10, v30, 0
	v_mov_b32_e32 v1, v6
	v_mad_u64_u32 v[6:7], s[0:1], s11, v30, v[1:2]
	ds_read2_b64 v[1:4], v26 offset1:1
	v_mov_b32_e32 v7, s56
	v_lshlrev_b64 v[5:6], 4, v[5:6]
	v_add_co_u32_e32 v5, vcc, s33, v5
	v_addc_co_u32_e32 v6, vcc, v7, v6, vcc
	s_waitcnt lgkmcnt(0)
	global_store_dwordx4 v[5:6], v[1:4], off
	s_branch .LBB7_4
.LBB7_43:
	s_mov_b64 s[0:1], 0
.LBB7_44:
	s_andn2_b64 vcc, exec, s[0:1]
	s_cbranch_vccnz .LBB7_81
; %bb.45:
	s_andn2_b64 vcc, exec, s[6:7]
	s_cbranch_vccnz .LBB7_81
; %bb.46:
	s_add_u32 s0, s20, s24
	s_addc_u32 s1, s21, s25
	s_add_u32 s0, s18, s0
	s_addc_u32 s1, s19, s1
	v_mov_b32_e32 v13, 0
	s_add_u32 s16, s0, 8
	v_mov_b32_e32 v1, v13
	s_addc_u32 s36, s1, 0
	v_mad_u64_u32 v[14:15], s[0:1], v0, v0, v[0:1]
	v_lshlrev_b32_e32 v1, 10, v0
	s_mov_b32 s0, 0x40200
	v_add_co_u32_e32 v18, vcc, s0, v1
	v_or_b32_e32 v12, 0x200, v0
	v_mov_b32_e32 v17, v13
	v_lshlrev_b32_e32 v24, 4, v0
	v_addc_co_u32_e64 v19, s[0:1], 0, 0, vcc
	s_mov_b32 s37, 0
	v_add_u32_e32 v25, 0x201, v0
	v_mov_b32_e32 v26, s15
	s_xor_b64 s[8:9], s[12:13], -1
	v_mov_b32_e32 v16, v12
	s_mov_b64 s[26:27], s[14:15]
	s_branch .LBB7_48
.LBB7_47:                               ;   in Loop: Header=BB7_48 Depth=1
	s_or_b64 exec, exec, s[4:5]
	v_add_co_u32_e32 v1, vcc, 0x80000, v18
	v_addc_co_u32_e32 v2, vcc, 0, v19, vcc
	v_add_co_u32_e32 v14, vcc, v14, v18
	s_add_u32 s16, s16, 0x2000
	v_addc_co_u32_e32 v15, vcc, v15, v19, vcc
	s_addc_u32 s36, s36, 0
	v_add_co_u32_e32 v16, vcc, 0x200, v16
	s_add_u32 s26, s26, 0x2000
	v_addc_co_u32_e32 v17, vcc, 0, v17, vcc
	v_mov_b32_e32 v19, v2
	s_addc_u32 s27, s27, 0
	v_add_u32_e32 v25, 0x200, v25
	s_and_b64 vcc, exec, s[2:3]
	v_mov_b32_e32 v18, v1
	s_mov_b32 s37, s38
	s_waitcnt vmcnt(0)
	s_barrier
	s_cbranch_vccnz .LBB7_81
.LBB7_48:                               ; =>This Loop Header: Depth=1
                                        ;     Child Loop BB7_52 Depth 2
                                        ;     Child Loop BB7_65 Depth 2
                                        ;       Child Loop BB7_68 Depth 3
	v_add_u32_e32 v27, s37, v0
	v_cmp_le_i32_e32 vcc, s17, v27
	v_cmp_gt_i32_e64 s[0:1], s17, v27
	s_and_saveexec_b64 s[4:5], s[0:1]
	s_cbranch_execz .LBB7_50
; %bb.49:                               ;   in Loop: Header=BB7_48 Depth=1
	v_mad_u64_u32 v[1:2], s[2:3], s10, v27, 0
	v_mad_u64_u32 v[2:3], s[2:3], s11, v27, v[2:3]
	v_mov_b32_e32 v3, s56
	v_lshlrev_b64 v[1:2], 4, v[1:2]
	v_add_co_u32_e64 v1, s[2:3], s33, v1
	v_addc_co_u32_e64 v2, s[2:3], v3, v2, s[2:3]
	global_load_dwordx4 v[1:4], v[1:2], off
	s_waitcnt vmcnt(0)
	ds_write2_b64 v24, v[1:2], v[3:4] offset1:1
.LBB7_50:                               ;   in Loop: Header=BB7_48 Depth=1
	s_or_b64 exec, exec, s[4:5]
	v_lshlrev_b64 v[1:2], 3, v[14:15]
	v_or_b32_e32 v12, s37, v0
	v_and_b32_e32 v1, -16, v1
	v_mov_b32_e32 v3, s36
	v_add_co_u32_e64 v20, s[2:3], s16, v1
	v_add_u32_e32 v1, 1, v12
	v_addc_co_u32_e64 v21, s[2:3], v3, v2, s[2:3]
	v_mad_u64_u32 v[1:2], s[2:3], v1, v12, 0
	v_lshlrev_b64 v[3:4], 4, v[12:13]
	v_cmp_le_i32_e64 s[2:3], s17, v12
	v_lshlrev_b64 v[1:2], 3, v[1:2]
	v_add_co_u32_e64 v3, s[4:5], s14, v3
	v_addc_co_u32_e64 v4, s[4:5], v26, v4, s[4:5]
	v_and_b32_e32 v1, -16, v1
	v_add_co_u32_e64 v22, s[4:5], v3, v1
	v_addc_co_u32_e64 v23, s[4:5], v4, v2, s[4:5]
	s_mov_b32 s34, 0
	s_xor_b64 s[4:5], vcc, -1
	s_mov_b32 s35, 0
	s_waitcnt lgkmcnt(0)
	s_barrier
	s_branch .LBB7_52
.LBB7_51:                               ;   in Loop: Header=BB7_52 Depth=2
	s_or_b64 exec, exec, s[28:29]
	s_add_i32 s35, s35, 1
	s_add_i32 s34, s34, 16
	v_add_co_u32_e32 v20, vcc, 16, v20
	s_cmpk_eq_i32 s35, 0x200
	v_addc_co_u32_e32 v21, vcc, 0, v21, vcc
	s_cbranch_scc1 .LBB7_61
.LBB7_52:                               ;   Parent Loop BB7_48 Depth=1
                                        ; =>  This Inner Loop Header: Depth=2
	v_cmp_ne_u32_e32 vcc, s35, v0
	s_or_b64 s[28:29], s[12:13], vcc
	s_nor_b64 s[30:31], s[28:29], s[2:3]
	s_and_saveexec_b64 s[28:29], s[30:31]
	s_cbranch_execz .LBB7_58
; %bb.53:                               ;   in Loop: Header=BB7_52 Depth=2
	global_load_dwordx4 v[5:8], v[22:23], off
	ds_read_b128 v[1:4], v24
                                        ; implicit-def: $vgpr9_vgpr10
	s_waitcnt vmcnt(0)
	v_cmp_ngt_f64_e64 s[30:31], |v[5:6]|, |v[7:8]|
	s_and_saveexec_b64 s[38:39], s[30:31]
	s_xor_b64 s[30:31], exec, s[38:39]
	s_cbranch_execz .LBB7_55
; %bb.54:                               ;   in Loop: Header=BB7_52 Depth=2
	v_div_scale_f64 v[9:10], s[38:39], v[7:8], v[7:8], v[5:6]
	v_rcp_f64_e32 v[11:12], v[9:10]
	v_fma_f64 v[28:29], -v[9:10], v[11:12], 1.0
	v_fma_f64 v[11:12], v[11:12], v[28:29], v[11:12]
	v_div_scale_f64 v[28:29], vcc, v[5:6], v[7:8], v[5:6]
	v_fma_f64 v[30:31], -v[9:10], v[11:12], 1.0
	v_fma_f64 v[11:12], v[11:12], v[30:31], v[11:12]
	v_mul_f64 v[30:31], v[28:29], v[11:12]
	v_fma_f64 v[9:10], -v[9:10], v[30:31], v[28:29]
	v_div_fmas_f64 v[9:10], v[9:10], v[11:12], v[30:31]
	v_div_fixup_f64 v[9:10], v[9:10], v[7:8], v[5:6]
	v_fma_f64 v[5:6], v[5:6], v[9:10], v[7:8]
	v_div_scale_f64 v[7:8], s[38:39], v[5:6], v[5:6], 1.0
	v_rcp_f64_e32 v[11:12], v[7:8]
	v_fma_f64 v[28:29], -v[7:8], v[11:12], 1.0
	v_fma_f64 v[11:12], v[11:12], v[28:29], v[11:12]
	v_div_scale_f64 v[28:29], vcc, 1.0, v[5:6], 1.0
	v_fma_f64 v[30:31], -v[7:8], v[11:12], 1.0
	v_fma_f64 v[11:12], v[11:12], v[30:31], v[11:12]
	v_mul_f64 v[30:31], v[28:29], v[11:12]
	v_fma_f64 v[7:8], -v[7:8], v[30:31], v[28:29]
	v_div_fmas_f64 v[7:8], v[7:8], v[11:12], v[30:31]
	s_waitcnt lgkmcnt(0)
	v_fma_f64 v[11:12], v[9:10], v[1:2], v[3:4]
	v_fma_f64 v[1:2], v[9:10], v[3:4], -v[1:2]
	v_div_fixup_f64 v[5:6], v[7:8], v[5:6], 1.0
	v_mul_f64 v[9:10], v[11:12], v[5:6]
	v_mul_f64 v[11:12], v[5:6], v[1:2]
                                        ; implicit-def: $vgpr5_vgpr6
                                        ; implicit-def: $vgpr3_vgpr4
.LBB7_55:                               ;   in Loop: Header=BB7_52 Depth=2
	s_andn2_saveexec_b64 s[30:31], s[30:31]
	s_cbranch_execz .LBB7_57
; %bb.56:                               ;   in Loop: Header=BB7_52 Depth=2
	v_div_scale_f64 v[9:10], s[38:39], v[5:6], v[5:6], v[7:8]
	v_rcp_f64_e32 v[11:12], v[9:10]
	v_fma_f64 v[28:29], -v[9:10], v[11:12], 1.0
	v_fma_f64 v[11:12], v[11:12], v[28:29], v[11:12]
	v_div_scale_f64 v[28:29], vcc, v[7:8], v[5:6], v[7:8]
	v_fma_f64 v[30:31], -v[9:10], v[11:12], 1.0
	v_fma_f64 v[11:12], v[11:12], v[30:31], v[11:12]
	v_mul_f64 v[30:31], v[28:29], v[11:12]
	v_fma_f64 v[9:10], -v[9:10], v[30:31], v[28:29]
	v_div_fmas_f64 v[9:10], v[9:10], v[11:12], v[30:31]
	v_div_fixup_f64 v[9:10], v[9:10], v[5:6], v[7:8]
	v_fma_f64 v[5:6], v[7:8], v[9:10], v[5:6]
	v_div_scale_f64 v[7:8], s[38:39], v[5:6], v[5:6], 1.0
	v_rcp_f64_e32 v[11:12], v[7:8]
	v_fma_f64 v[28:29], -v[7:8], v[11:12], 1.0
	v_fma_f64 v[11:12], v[11:12], v[28:29], v[11:12]
	v_div_scale_f64 v[28:29], vcc, 1.0, v[5:6], 1.0
	v_fma_f64 v[30:31], -v[7:8], v[11:12], 1.0
	v_fma_f64 v[11:12], v[11:12], v[30:31], v[11:12]
	v_mul_f64 v[30:31], v[28:29], v[11:12]
	v_fma_f64 v[7:8], -v[7:8], v[30:31], v[28:29]
	v_div_fmas_f64 v[7:8], v[7:8], v[11:12], v[30:31]
	s_waitcnt lgkmcnt(0)
	v_fma_f64 v[11:12], v[9:10], v[3:4], v[1:2]
	v_fma_f64 v[1:2], -v[9:10], v[1:2], v[3:4]
	v_div_fixup_f64 v[5:6], v[7:8], v[5:6], 1.0
	v_mul_f64 v[9:10], v[5:6], v[11:12]
	v_mul_f64 v[11:12], v[1:2], v[5:6]
.LBB7_57:                               ;   in Loop: Header=BB7_52 Depth=2
	s_or_b64 exec, exec, s[30:31]
	ds_write_b128 v24, v[9:12]
.LBB7_58:                               ;   in Loop: Header=BB7_52 Depth=2
	s_or_b64 exec, exec, s[28:29]
	v_cmp_lt_u32_e32 vcc, s35, v0
	s_waitcnt lgkmcnt(0)
	s_barrier
	s_and_saveexec_b64 s[28:29], vcc
	s_cbranch_execz .LBB7_51
; %bb.59:                               ;   in Loop: Header=BB7_52 Depth=2
	s_add_i32 s30, s37, s35
	s_cmp_lt_i32 s30, s17
	s_cselect_b64 s[30:31], -1, 0
	s_and_b64 s[30:31], s[4:5], s[30:31]
	s_and_b64 exec, exec, s[30:31]
	s_cbranch_execz .LBB7_51
; %bb.60:                               ;   in Loop: Header=BB7_52 Depth=2
	global_load_dwordx4 v[1:4], v[20:21], off offset:-8
	v_mov_b32_e32 v5, s34
	ds_read_b128 v[5:8], v5
	s_waitcnt vmcnt(0) lgkmcnt(0)
	v_mul_f64 v[9:10], v[3:4], v[7:8]
	v_mul_f64 v[7:8], v[1:2], v[7:8]
	v_fma_f64 v[9:10], v[1:2], v[5:6], -v[9:10]
	v_fma_f64 v[5:6], v[3:4], v[5:6], v[7:8]
	ds_read_b128 v[1:4], v24
	s_waitcnt lgkmcnt(0)
	v_add_f64 v[1:2], v[1:2], -v[9:10]
	v_add_f64 v[3:4], v[3:4], -v[5:6]
	ds_write_b128 v24, v[1:4]
	s_branch .LBB7_51
.LBB7_61:                               ;   in Loop: Header=BB7_48 Depth=1
	s_add_i32 s38, s37, 0x200
	s_cmp_ge_i32 s38, s17
	s_cselect_b64 s[2:3], -1, 0
	s_and_b64 vcc, exec, s[2:3]
	s_waitcnt lgkmcnt(0)
	s_barrier
	s_cbranch_vccnz .LBB7_79
; %bb.62:                               ;   in Loop: Header=BB7_48 Depth=1
	v_mov_b32_e32 v1, v16
	s_mov_b64 s[4:5], 0
	v_mov_b32_e32 v9, v25
	v_mov_b32_e32 v2, v17
	;; [unrolled: 1-line block ×3, first 2 shown]
	s_mov_b32 s39, s38
                                        ; implicit-def: $sgpr28_sgpr29
	s_branch .LBB7_65
.LBB7_63:                               ;   in Loop: Header=BB7_65 Depth=2
	v_mad_u64_u32 v[7:8], s[34:35], s10, v11, 0
	s_addk_i32 s39, 0x200
	s_cmp_ge_i32 s39, s17
	v_mad_u64_u32 v[11:12], s[34:35], s11, v11, v[8:9]
	v_mov_b32_e32 v12, s56
	s_cselect_b64 s[34:35], -1, 0
	v_mov_b32_e32 v8, v11
	v_lshlrev_b64 v[7:8], 4, v[7:8]
	s_andn2_b64 s[28:29], s[28:29], exec
	v_add_co_u32_e32 v11, vcc, s33, v7
	v_addc_co_u32_e32 v12, vcc, v12, v8, vcc
	global_load_dwordx4 v[20:23], v[11:12], off
	v_add_co_u32_e32 v1, vcc, 0x200, v1
	s_and_b64 s[34:35], s[34:35], exec
	v_add_u32_e32 v9, 0x200, v9
	v_addc_co_u32_e32 v2, vcc, 0, v2, vcc
	s_or_b64 s[28:29], s[28:29], s[34:35]
	s_waitcnt vmcnt(0)
	v_add_f64 v[5:6], v[20:21], -v[5:6]
	v_add_f64 v[7:8], v[22:23], -v[3:4]
	global_store_dwordx4 v[11:12], v[5:8], off
.LBB7_64:                               ;   in Loop: Header=BB7_65 Depth=2
	s_or_b64 exec, exec, s[30:31]
	s_and_b64 s[30:31], exec, s[28:29]
	s_or_b64 s[4:5], s[30:31], s[4:5]
	s_andn2_b64 exec, exec, s[4:5]
	s_cbranch_execz .LBB7_78
.LBB7_65:                               ;   Parent Loop BB7_48 Depth=1
                                        ; =>  This Loop Header: Depth=2
                                        ;       Child Loop BB7_68 Depth 3
	v_add_u32_e32 v11, s39, v0
	v_cmp_gt_i32_e32 vcc, s17, v11
	s_or_b64 s[28:29], s[28:29], exec
	s_and_saveexec_b64 s[30:31], vcc
	s_cbranch_execz .LBB7_64
; %bb.66:                               ;   in Loop: Header=BB7_65 Depth=2
	v_mad_u64_u32 v[3:4], s[34:35], v1, v9, 0
	v_add_u32_e32 v12, 0x1ff, v10
	v_add_u32_e32 v10, 0x200, v10
	v_mad_u64_u32 v[4:5], s[34:35], v2, v9, v[4:5]
	v_mov_b32_e32 v5, s27
	s_mov_b32 s40, 0
	v_lshlrev_b64 v[3:4], 3, v[3:4]
	s_mov_b32 s41, 0
	v_and_b32_e32 v3, -16, v3
	v_add_co_u32_e32 v7, vcc, s26, v3
	v_addc_co_u32_e32 v8, vcc, v5, v4, vcc
	v_mov_b32_e32 v3, 0
	v_mov_b32_e32 v5, 0
	;; [unrolled: 1-line block ×4, first 2 shown]
	s_branch .LBB7_68
.LBB7_67:                               ;   in Loop: Header=BB7_68 Depth=3
	s_or_b64 exec, exec, s[34:35]
	s_add_i32 s41, s41, 2
	s_add_i32 s40, s40, 32
	v_add_co_u32_e32 v7, vcc, 32, v7
	s_cmpk_eq_i32 s41, 0x200
	v_addc_co_u32_e32 v8, vcc, 0, v8, vcc
	s_cbranch_scc1 .LBB7_63
.LBB7_68:                               ;   Parent Loop BB7_48 Depth=1
                                        ;     Parent Loop BB7_65 Depth=2
                                        ; =>    This Inner Loop Header: Depth=3
	v_cmp_ne_u32_e32 vcc, s41, v10
	s_add_i32 s42, s37, s41
	s_or_b64 s[34:35], s[8:9], vcc
	s_and_saveexec_b64 s[44:45], s[34:35]
	s_xor_b64 s[34:35], exec, s[44:45]
	s_cbranch_execz .LBB7_71
; %bb.69:                               ;   in Loop: Header=BB7_68 Depth=3
	s_cmp_ge_i32 s42, s17
	s_cbranch_scc1 .LBB7_71
; %bb.70:                               ;   in Loop: Header=BB7_68 Depth=3
	global_load_dwordx4 v[20:23], v[7:8], off
	v_mov_b32_e32 v28, s40
	ds_read_b128 v[28:31], v28
	s_waitcnt vmcnt(0) lgkmcnt(0)
	v_mul_f64 v[32:33], v[22:23], v[30:31]
	v_mul_f64 v[30:31], v[20:21], v[30:31]
	v_fma_f64 v[20:21], v[20:21], v[28:29], -v[32:33]
	v_fma_f64 v[22:23], v[22:23], v[28:29], v[30:31]
	v_add_f64 v[5:6], v[5:6], v[20:21]
	v_add_f64 v[3:4], v[3:4], v[22:23]
.LBB7_71:                               ;   in Loop: Header=BB7_68 Depth=3
	s_andn2_saveexec_b64 s[34:35], s[34:35]
	s_cbranch_execz .LBB7_73
; %bb.72:                               ;   in Loop: Header=BB7_68 Depth=3
	v_mov_b32_e32 v20, s40
	ds_read_b128 v[20:23], v20
	s_waitcnt lgkmcnt(0)
	v_add_f64 v[5:6], v[5:6], v[20:21]
	v_add_f64 v[3:4], v[3:4], v[22:23]
.LBB7_73:                               ;   in Loop: Header=BB7_68 Depth=3
	s_or_b64 exec, exec, s[34:35]
	v_cmp_ne_u32_e32 vcc, s41, v12
	s_or_b64 s[34:35], s[8:9], vcc
	s_and_saveexec_b64 s[44:45], s[34:35]
	s_xor_b64 s[34:35], exec, s[44:45]
	s_cbranch_execz .LBB7_76
; %bb.74:                               ;   in Loop: Header=BB7_68 Depth=3
	s_add_i32 s42, s42, 1
	s_cmp_ge_i32 s42, s17
	s_cbranch_scc1 .LBB7_76
; %bb.75:                               ;   in Loop: Header=BB7_68 Depth=3
	global_load_dwordx4 v[20:23], v[7:8], off offset:16
	v_mov_b32_e32 v28, s40
	ds_read_b128 v[28:31], v28 offset:16
	s_waitcnt vmcnt(0) lgkmcnt(0)
	v_mul_f64 v[32:33], v[22:23], v[30:31]
	v_mul_f64 v[30:31], v[20:21], v[30:31]
	v_fma_f64 v[20:21], v[20:21], v[28:29], -v[32:33]
	v_fma_f64 v[22:23], v[22:23], v[28:29], v[30:31]
	v_add_f64 v[5:6], v[5:6], v[20:21]
	v_add_f64 v[3:4], v[3:4], v[22:23]
.LBB7_76:                               ;   in Loop: Header=BB7_68 Depth=3
	s_andn2_saveexec_b64 s[34:35], s[34:35]
	s_cbranch_execz .LBB7_67
; %bb.77:                               ;   in Loop: Header=BB7_68 Depth=3
	v_mov_b32_e32 v20, s40
	ds_read_b128 v[20:23], v20 offset:16
	s_waitcnt lgkmcnt(0)
	v_add_f64 v[5:6], v[5:6], v[20:21]
	v_add_f64 v[3:4], v[3:4], v[22:23]
	s_branch .LBB7_67
.LBB7_78:                               ;   in Loop: Header=BB7_48 Depth=1
	s_or_b64 exec, exec, s[4:5]
.LBB7_79:                               ;   in Loop: Header=BB7_48 Depth=1
	s_and_saveexec_b64 s[4:5], s[0:1]
	s_cbranch_execz .LBB7_47
; %bb.80:                               ;   in Loop: Header=BB7_48 Depth=1
	v_mad_u64_u32 v[5:6], s[0:1], s10, v27, 0
	v_mov_b32_e32 v1, v6
	v_mad_u64_u32 v[6:7], s[0:1], s11, v27, v[1:2]
	ds_read2_b64 v[1:4], v24 offset1:1
	v_mov_b32_e32 v7, s56
	v_lshlrev_b64 v[5:6], 4, v[5:6]
	v_add_co_u32_e32 v5, vcc, s33, v5
	v_addc_co_u32_e32 v6, vcc, v7, v6, vcc
	s_waitcnt lgkmcnt(0)
	global_store_dwordx4 v[5:6], v[1:4], off
	s_branch .LBB7_47
.LBB7_81:
	s_mov_b64 s[0:1], 0
.LBB7_82:
	s_andn2_b64 vcc, exec, s[0:1]
	s_cbranch_vccnz .LBB7_156
; %bb.83:
	s_mov_b64 s[0:1], -1
	s_and_b64 vcc, exec, s[22:23]
	s_cbranch_vccz .LBB7_122
; %bb.84:
	s_andn2_b64 vcc, exec, s[6:7]
	s_cbranch_vccnz .LBB7_121
; %bb.85:
	s_lshl_b32 s8, s17, 1
	s_or_b32 s16, s8, 1
	s_ashr_i32 s9, s8, 31
	s_add_u32 s0, s20, s24
	s_addc_u32 s1, s21, s25
	s_add_u32 s2, s18, s0
	s_addc_u32 s3, s19, s1
	s_lshl_b64 s[0:1], s[8:9], 9
	s_add_u32 s30, s0, 0xfffc0200
	s_addc_u32 s31, s1, -1
	s_add_u32 s57, s2, -16
	s_addc_u32 s58, s3, -1
	s_add_u32 s24, s0, 0xfffbfe00
	s_addc_u32 s25, s1, -1
	s_lshl_b64 s[0:1], s[8:9], 1
	s_add_u32 s18, s0, -6
	v_lshlrev_b32_e32 v20, 4, v0
	s_addc_u32 s19, s1, -1
	v_mov_b32_e32 v2, s3
	v_add_co_u32_e32 v3, vcc, s2, v20
	s_add_u32 s59, s2, 8
	v_addc_co_u32_e32 v2, vcc, 0, v2, vcc
	s_addc_u32 s60, s3, 0
	v_add_co_u32_e32 v14, vcc, 8, v3
	s_add_u32 s20, s0, -2
	v_mov_b32_e32 v1, 0
	v_addc_co_u32_e32 v15, vcc, 0, v2, vcc
	v_or_b32_e32 v21, 0x200, v0
	s_addc_u32 s21, s1, -1
	s_mov_b64 s[22:23], 0
	v_mov_b32_e32 v22, s15
	s_mov_b64 s[26:27], 0
	s_mov_b64 s[28:29], s[8:9]
	;; [unrolled: 1-line block ×3, first 2 shown]
	s_branch .LBB7_87
.LBB7_86:                               ;   in Loop: Header=BB7_87 Depth=1
	s_or_b64 exec, exec, s[34:35]
	s_add_u32 s0, s30, 0xfff80000
	s_addc_u32 s1, s31, -1
	s_add_u32 s22, s22, s30
	s_addc_u32 s23, s23, s31
	s_add_u32 s28, s28, 0xfffffc00
	s_addc_u32 s29, s29, -1
	s_add_u32 s26, s26, 0xfffffe00
	s_addc_u32 s27, s27, -1
	;; [unrolled: 2-line block ×3, first 2 shown]
	s_add_u32 s8, s8, s24
	s_addc_u32 s9, s9, s25
	s_add_u32 s18, s18, 0xfffff800
	s_addc_u32 s19, s19, -1
	s_add_u32 s20, s20, 0xfffff800
	v_add_u32_e32 v21, 0x200, v21
	s_addc_u32 s21, s21, -1
	s_and_b64 vcc, exec, s[4:5]
	s_mov_b64 s[24:25], s[30:31]
	s_mov_b64 s[30:31], s[0:1]
	;; [unrolled: 1-line block ×3, first 2 shown]
	s_waitcnt vmcnt(0)
	s_barrier
	s_cbranch_vccnz .LBB7_121
.LBB7_87:                               ; =>This Loop Header: Depth=1
                                        ;     Child Loop BB7_91 Depth 2
                                        ;     Child Loop BB7_104 Depth 2
                                        ;       Child Loop BB7_106 Depth 3
	v_add_u32_e32 v23, s34, v0
	v_cmp_le_i32_e32 vcc, s17, v23
	v_cmp_gt_i32_e64 s[0:1], s17, v23
	s_and_saveexec_b64 s[4:5], s[0:1]
	s_cbranch_execz .LBB7_89
; %bb.88:                               ;   in Loop: Header=BB7_87 Depth=1
	v_mad_u64_u32 v[2:3], s[2:3], s10, v23, 0
	v_mad_u64_u32 v[3:4], s[2:3], s11, v23, v[3:4]
	v_mov_b32_e32 v4, s56
	v_lshlrev_b64 v[2:3], 4, v[2:3]
	v_add_co_u32_e64 v2, s[2:3], s33, v2
	v_addc_co_u32_e64 v3, s[2:3], v4, v3, s[2:3]
	global_load_dwordx4 v[2:5], v[2:3], off
	s_waitcnt vmcnt(0)
	ds_write2_b64 v20, v[2:3], v[4:5] offset1:1
.LBB7_89:                               ;   in Loop: Header=BB7_87 Depth=1
	s_or_b64 exec, exec, s[4:5]
	v_or_b32_e32 v5, s34, v0
	v_sub_u32_e32 v4, s16, v5
	v_mad_u64_u32 v[2:3], s[2:3], v4, v5, 0
	v_ashrrev_i32_e32 v4, 31, v4
	v_mov_b32_e32 v19, v15
	v_mad_u64_u32 v[3:4], s[2:3], v4, v5, v[3:4]
	v_cmp_le_i32_e64 s[2:3], s17, v5
	s_mov_b32 s46, 0
	v_lshlrev_b64 v[2:3], 3, v[2:3]
	s_xor_b64 s[36:37], vcc, -1
	v_and_b32_e32 v2, -16, v2
	v_add_co_u32_e64 v16, s[4:5], s14, v2
	v_addc_co_u32_e64 v17, s[4:5], v22, v3, s[4:5]
	s_mov_b64 s[4:5], 0
	s_mov_b64 s[38:39], s[22:23]
	;; [unrolled: 1-line block ×3, first 2 shown]
	v_mov_b32_e32 v18, v14
	s_waitcnt lgkmcnt(0)
	s_barrier
	s_branch .LBB7_91
.LBB7_90:                               ;   in Loop: Header=BB7_91 Depth=2
	s_or_b64 exec, exec, s[42:43]
	s_add_u32 s4, s4, 1
	s_addc_u32 s5, s5, 0
	s_add_u32 s42, s40, -2
	s_addc_u32 s43, s41, -1
	s_add_u32 s38, s38, s40
	v_add_co_u32_e32 v18, vcc, -16, v18
	s_addc_u32 s39, s39, s41
	s_add_i32 s46, s46, 16
	v_addc_co_u32_e32 v19, vcc, -1, v19, vcc
	s_cmpk_eq_i32 s4, 0x200
	s_mov_b64 s[40:41], s[42:43]
	s_cbranch_scc1 .LBB7_100
.LBB7_91:                               ;   Parent Loop BB7_87 Depth=1
                                        ; =>  This Inner Loop Header: Depth=2
	v_cmp_ne_u32_e32 vcc, s4, v0
	s_or_b64 s[42:43], s[12:13], vcc
	s_nor_b64 s[44:45], s[42:43], s[2:3]
	s_and_saveexec_b64 s[42:43], s[44:45]
	s_cbranch_execz .LBB7_97
; %bb.92:                               ;   in Loop: Header=BB7_91 Depth=2
	global_load_dwordx4 v[6:9], v[16:17], off
	ds_read_b128 v[2:5], v20
                                        ; implicit-def: $vgpr10_vgpr11
	s_waitcnt vmcnt(0)
	v_cmp_ngt_f64_e64 s[44:45], |v[6:7]|, |v[8:9]|
	s_and_saveexec_b64 s[48:49], s[44:45]
	s_xor_b64 s[44:45], exec, s[48:49]
	s_cbranch_execz .LBB7_94
; %bb.93:                               ;   in Loop: Header=BB7_91 Depth=2
	v_div_scale_f64 v[10:11], s[48:49], v[8:9], v[8:9], v[6:7]
	v_rcp_f64_e32 v[12:13], v[10:11]
	v_fma_f64 v[24:25], -v[10:11], v[12:13], 1.0
	v_fma_f64 v[12:13], v[12:13], v[24:25], v[12:13]
	v_div_scale_f64 v[24:25], vcc, v[6:7], v[8:9], v[6:7]
	v_fma_f64 v[26:27], -v[10:11], v[12:13], 1.0
	v_fma_f64 v[12:13], v[12:13], v[26:27], v[12:13]
	v_mul_f64 v[26:27], v[24:25], v[12:13]
	v_fma_f64 v[10:11], -v[10:11], v[26:27], v[24:25]
	v_div_fmas_f64 v[10:11], v[10:11], v[12:13], v[26:27]
	v_div_fixup_f64 v[10:11], v[10:11], v[8:9], v[6:7]
	v_fma_f64 v[6:7], v[6:7], v[10:11], v[8:9]
	v_div_scale_f64 v[8:9], s[48:49], v[6:7], v[6:7], 1.0
	v_rcp_f64_e32 v[12:13], v[8:9]
	v_fma_f64 v[24:25], -v[8:9], v[12:13], 1.0
	v_fma_f64 v[12:13], v[12:13], v[24:25], v[12:13]
	v_div_scale_f64 v[24:25], vcc, 1.0, v[6:7], 1.0
	v_fma_f64 v[26:27], -v[8:9], v[12:13], 1.0
	v_fma_f64 v[12:13], v[12:13], v[26:27], v[12:13]
	v_mul_f64 v[26:27], v[24:25], v[12:13]
	v_fma_f64 v[8:9], -v[8:9], v[26:27], v[24:25]
	v_div_fmas_f64 v[8:9], v[8:9], v[12:13], v[26:27]
	s_waitcnt lgkmcnt(0)
	v_fma_f64 v[12:13], v[10:11], v[2:3], v[4:5]
	v_fma_f64 v[2:3], v[10:11], v[4:5], -v[2:3]
	v_div_fixup_f64 v[6:7], v[8:9], v[6:7], 1.0
	v_mul_f64 v[10:11], v[12:13], v[6:7]
	v_mul_f64 v[12:13], v[6:7], v[2:3]
                                        ; implicit-def: $vgpr6_vgpr7
                                        ; implicit-def: $vgpr4_vgpr5
.LBB7_94:                               ;   in Loop: Header=BB7_91 Depth=2
	s_andn2_saveexec_b64 s[44:45], s[44:45]
	s_cbranch_execz .LBB7_96
; %bb.95:                               ;   in Loop: Header=BB7_91 Depth=2
	v_div_scale_f64 v[10:11], s[48:49], v[6:7], v[6:7], v[8:9]
	v_rcp_f64_e32 v[12:13], v[10:11]
	v_fma_f64 v[24:25], -v[10:11], v[12:13], 1.0
	v_fma_f64 v[12:13], v[12:13], v[24:25], v[12:13]
	v_div_scale_f64 v[24:25], vcc, v[8:9], v[6:7], v[8:9]
	v_fma_f64 v[26:27], -v[10:11], v[12:13], 1.0
	v_fma_f64 v[12:13], v[12:13], v[26:27], v[12:13]
	v_mul_f64 v[26:27], v[24:25], v[12:13]
	v_fma_f64 v[10:11], -v[10:11], v[26:27], v[24:25]
	v_div_fmas_f64 v[10:11], v[10:11], v[12:13], v[26:27]
	v_div_fixup_f64 v[10:11], v[10:11], v[6:7], v[8:9]
	v_fma_f64 v[6:7], v[8:9], v[10:11], v[6:7]
	v_div_scale_f64 v[8:9], s[48:49], v[6:7], v[6:7], 1.0
	v_rcp_f64_e32 v[12:13], v[8:9]
	v_fma_f64 v[24:25], -v[8:9], v[12:13], 1.0
	v_fma_f64 v[12:13], v[12:13], v[24:25], v[12:13]
	v_div_scale_f64 v[24:25], vcc, 1.0, v[6:7], 1.0
	v_fma_f64 v[26:27], -v[8:9], v[12:13], 1.0
	v_fma_f64 v[12:13], v[12:13], v[26:27], v[12:13]
	v_mul_f64 v[26:27], v[24:25], v[12:13]
	v_fma_f64 v[8:9], -v[8:9], v[26:27], v[24:25]
	v_div_fmas_f64 v[8:9], v[8:9], v[12:13], v[26:27]
	s_waitcnt lgkmcnt(0)
	v_fma_f64 v[12:13], v[10:11], v[4:5], v[2:3]
	v_fma_f64 v[2:3], -v[10:11], v[2:3], v[4:5]
	v_div_fixup_f64 v[6:7], v[8:9], v[6:7], 1.0
	v_mul_f64 v[10:11], v[6:7], v[12:13]
	v_mul_f64 v[12:13], v[2:3], v[6:7]
.LBB7_96:                               ;   in Loop: Header=BB7_91 Depth=2
	s_or_b64 exec, exec, s[44:45]
	ds_write_b128 v20, v[10:13]
.LBB7_97:                               ;   in Loop: Header=BB7_91 Depth=2
	s_or_b64 exec, exec, s[42:43]
	v_cmp_lt_u32_e32 vcc, s4, v0
	s_waitcnt lgkmcnt(0)
	s_barrier
	s_and_saveexec_b64 s[42:43], vcc
	s_cbranch_execz .LBB7_90
; %bb.98:                               ;   in Loop: Header=BB7_91 Depth=2
	s_add_i32 s44, s34, s4
	s_cmp_lt_i32 s44, s17
	s_cselect_b64 s[44:45], -1, 0
	s_and_b64 s[44:45], s[36:37], s[44:45]
	s_and_b64 exec, exec, s[44:45]
	s_cbranch_execz .LBB7_90
; %bb.99:                               ;   in Loop: Header=BB7_91 Depth=2
	s_lshl_b64 s[44:45], s[38:39], 3
	s_and_b32 s44, s44, -16
	v_mov_b32_e32 v3, s45
	v_add_co_u32_e32 v2, vcc, s44, v18
	v_addc_co_u32_e32 v3, vcc, v19, v3, vcc
	global_load_dwordx4 v[2:5], v[2:3], off offset:-8
	v_mov_b32_e32 v6, s46
	ds_read_b128 v[6:9], v6
	s_waitcnt vmcnt(0) lgkmcnt(0)
	v_mul_f64 v[10:11], v[4:5], v[8:9]
	v_mul_f64 v[8:9], v[2:3], v[8:9]
	v_fma_f64 v[10:11], v[2:3], v[6:7], -v[10:11]
	v_fma_f64 v[6:7], v[4:5], v[6:7], v[8:9]
	ds_read_b128 v[2:5], v20
	s_waitcnt lgkmcnt(0)
	v_add_f64 v[2:3], v[2:3], -v[10:11]
	v_add_f64 v[4:5], v[4:5], -v[6:7]
	ds_write_b128 v20, v[2:5]
	s_branch .LBB7_90
.LBB7_100:                              ;   in Loop: Header=BB7_87 Depth=1
	s_add_u32 s2, s34, 0x200
	s_addc_u32 s3, s35, 0
	s_cmp_ge_i32 s2, s17
	s_cselect_b64 s[4:5], -1, 0
	s_and_b64 vcc, exec, s[4:5]
	s_waitcnt lgkmcnt(0)
	s_barrier
	s_cbranch_vccnz .LBB7_119
; %bb.101:                              ;   in Loop: Header=BB7_87 Depth=1
	v_ashrrev_i32_e32 v3, 31, v21
	v_mov_b32_e32 v4, s27
	v_add_co_u32_e32 v2, vcc, s26, v21
	v_addc_co_u32_e32 v3, vcc, v4, v3, vcc
	v_lshlrev_b64 v[4:5], 4, v[2:3]
	v_mov_b32_e32 v3, s58
	v_add_co_u32_e32 v2, vcc, s57, v4
	v_addc_co_u32_e32 v3, vcc, v3, v5, vcc
	v_mov_b32_e32 v6, s60
	v_add_co_u32_e32 v4, vcc, s59, v4
	v_addc_co_u32_e32 v5, vcc, v6, v5, vcc
	v_mov_b32_e32 v7, v1
	s_mov_b32 s35, s2
	s_mov_b64 s[36:37], 0
	v_mov_b32_e32 v6, v0
                                        ; implicit-def: $sgpr38_sgpr39
	s_branch .LBB7_104
.LBB7_102:                              ;   in Loop: Header=BB7_104 Depth=2
	v_mad_u64_u32 v[12:13], s[42:43], s10, v18, 0
	s_addk_i32 s35, 0x200
	s_cmp_ge_i32 s35, s17
	v_mad_u64_u32 v[16:17], s[42:43], s11, v18, v[13:14]
	v_mov_b32_e32 v17, s56
	s_cselect_b64 s[42:43], -1, 0
	v_mov_b32_e32 v13, v16
	v_lshlrev_b64 v[12:13], 4, v[12:13]
	s_andn2_b64 s[38:39], s[38:39], exec
	v_add_co_u32_e32 v24, vcc, s33, v12
	v_addc_co_u32_e32 v25, vcc, v17, v13, vcc
	global_load_dwordx4 v[16:19], v[24:25], off
	v_add_co_u32_e32 v2, vcc, 0x2000, v2
	v_addc_co_u32_e32 v3, vcc, 0, v3, vcc
	v_add_co_u32_e32 v4, vcc, 0x2000, v4
	s_and_b64 s[42:43], s[42:43], exec
	v_addc_co_u32_e32 v5, vcc, 0, v5, vcc
	s_or_b64 s[38:39], s[38:39], s[42:43]
	s_waitcnt vmcnt(0)
	v_add_f64 v[10:11], v[16:17], -v[10:11]
	v_add_f64 v[12:13], v[18:19], -v[8:9]
	global_store_dwordx4 v[24:25], v[10:13], off
.LBB7_103:                              ;   in Loop: Header=BB7_104 Depth=2
	s_or_b64 exec, exec, s[40:41]
	s_and_b64 s[40:41], exec, s[38:39]
	s_or_b64 s[36:37], s[40:41], s[36:37]
	s_andn2_b64 exec, exec, s[36:37]
	s_cbranch_execz .LBB7_118
.LBB7_104:                              ;   Parent Loop BB7_87 Depth=1
                                        ; =>  This Loop Header: Depth=2
                                        ;       Child Loop BB7_106 Depth 3
	v_add_u32_e32 v18, s35, v0
	v_cmp_gt_i32_e32 vcc, s17, v18
	s_or_b64 s[38:39], s[38:39], exec
	s_and_saveexec_b64 s[40:41], vcc
	s_cbranch_execz .LBB7_103
; %bb.105:                              ;   in Loop: Header=BB7_104 Depth=2
	v_add_co_u32_e32 v19, vcc, 0x1ff, v6
	v_add_co_u32_e32 v6, vcc, 0x200, v6
	v_mov_b32_e32 v8, 0
	v_mov_b32_e32 v13, v5
	;; [unrolled: 1-line block ×4, first 2 shown]
	v_addc_co_u32_e32 v7, vcc, 0, v7, vcc
	v_mov_b32_e32 v9, 0
	s_mov_b64 s[42:43], 0
	s_mov_b32 s61, 0
	s_mov_b64 s[44:45], s[22:23]
	s_mov_b64 s[48:49], s[20:21]
	v_mov_b32_e32 v12, v4
	s_mov_b64 s[46:47], s[8:9]
	s_mov_b64 s[50:51], s[18:19]
	v_mov_b32_e32 v11, 0
	v_mov_b32_e32 v16, v2
.LBB7_106:                              ;   Parent Loop BB7_87 Depth=1
                                        ;     Parent Loop BB7_104 Depth=2
                                        ; =>    This Inner Loop Header: Depth=3
	v_cmp_ne_u32_e32 vcc, s42, v6
	s_xor_b64 s[52:53], s[12:13], -1
	s_add_u32 s62, s34, s42
	s_or_b64 s[54:55], s[52:53], vcc
	s_and_saveexec_b64 s[64:65], s[54:55]
	s_xor_b64 s[54:55], exec, s[64:65]
	s_cbranch_execz .LBB7_109
; %bb.107:                              ;   in Loop: Header=BB7_106 Depth=3
	s_cmp_ge_i32 s62, s17
	s_cbranch_scc1 .LBB7_109
; %bb.108:                              ;   in Loop: Header=BB7_106 Depth=3
	s_lshl_b64 s[64:65], s[44:45], 3
	s_and_b32 s63, s64, -16
	v_mov_b32_e32 v25, s65
	v_add_co_u32_e32 v24, vcc, s63, v12
	v_addc_co_u32_e32 v25, vcc, v13, v25, vcc
	global_load_dwordx4 v[24:27], v[24:25], off offset:-8
	v_mov_b32_e32 v28, s61
	ds_read_b128 v[28:31], v28
	s_waitcnt vmcnt(0) lgkmcnt(0)
	v_mul_f64 v[32:33], v[26:27], v[30:31]
	v_mul_f64 v[30:31], v[24:25], v[30:31]
	v_fma_f64 v[24:25], v[24:25], v[28:29], -v[32:33]
	v_fma_f64 v[26:27], v[26:27], v[28:29], v[30:31]
	v_add_f64 v[10:11], v[10:11], v[24:25]
	v_add_f64 v[8:9], v[8:9], v[26:27]
.LBB7_109:                              ;   in Loop: Header=BB7_106 Depth=3
	s_andn2_saveexec_b64 s[54:55], s[54:55]
	s_cbranch_execz .LBB7_111
; %bb.110:                              ;   in Loop: Header=BB7_106 Depth=3
	v_mov_b32_e32 v24, s61
	ds_read_b128 v[24:27], v24
	s_waitcnt lgkmcnt(0)
	v_add_f64 v[10:11], v[10:11], v[24:25]
	v_add_f64 v[8:9], v[8:9], v[26:27]
.LBB7_111:                              ;   in Loop: Header=BB7_106 Depth=3
	s_or_b64 exec, exec, s[54:55]
	v_cmp_ne_u32_e32 vcc, s42, v19
	s_or_b64 s[52:53], s[52:53], vcc
	s_and_saveexec_b64 s[54:55], s[52:53]
	s_xor_b64 s[52:53], exec, s[54:55]
	s_cbranch_execz .LBB7_114
; %bb.112:                              ;   in Loop: Header=BB7_106 Depth=3
	s_add_i32 s62, s62, 1
	s_cmp_ge_i32 s62, s17
	s_cbranch_scc1 .LBB7_114
; %bb.113:                              ;   in Loop: Header=BB7_106 Depth=3
	s_lshl_b64 s[54:55], s[46:47], 3
	s_and_b32 s54, s54, -16
	v_mov_b32_e32 v25, s55
	v_add_co_u32_e32 v24, vcc, s54, v16
	v_addc_co_u32_e32 v25, vcc, v17, v25, vcc
	global_load_dwordx4 v[24:27], v[24:25], off
	v_mov_b32_e32 v28, s61
	ds_read_b128 v[28:31], v28 offset:16
	s_waitcnt vmcnt(0) lgkmcnt(0)
	v_mul_f64 v[32:33], v[26:27], v[30:31]
	v_mul_f64 v[30:31], v[24:25], v[30:31]
	v_fma_f64 v[24:25], v[24:25], v[28:29], -v[32:33]
	v_fma_f64 v[26:27], v[26:27], v[28:29], v[30:31]
	v_add_f64 v[10:11], v[10:11], v[24:25]
	v_add_f64 v[8:9], v[8:9], v[26:27]
.LBB7_114:                              ;   in Loop: Header=BB7_106 Depth=3
	s_andn2_saveexec_b64 s[52:53], s[52:53]
	s_cbranch_execz .LBB7_116
; %bb.115:                              ;   in Loop: Header=BB7_106 Depth=3
	v_mov_b32_e32 v24, s61
	ds_read_b128 v[24:27], v24 offset:16
	s_waitcnt lgkmcnt(0)
	v_add_f64 v[10:11], v[10:11], v[24:25]
	v_add_f64 v[8:9], v[8:9], v[26:27]
.LBB7_116:                              ;   in Loop: Header=BB7_106 Depth=3
	s_or_b64 exec, exec, s[52:53]
	s_add_u32 s42, s42, 2
	s_addc_u32 s43, s43, 0
	s_add_i32 s61, s61, 32
	s_add_u32 s52, s50, -8
	s_addc_u32 s53, s51, -1
	s_add_u32 s46, s46, s50
	s_addc_u32 s47, s47, s51
	s_add_u32 s50, s48, -8
	v_add_co_u32_e32 v16, vcc, 0xffffffe0, v16
	s_addc_u32 s51, s49, -1
	v_addc_co_u32_e32 v17, vcc, -1, v17, vcc
	s_add_u32 s44, s44, s48
	v_add_co_u32_e32 v12, vcc, 0xffffffe0, v12
	s_addc_u32 s45, s45, s49
	s_cmpk_eq_i32 s42, 0x200
	v_addc_co_u32_e32 v13, vcc, -1, v13, vcc
	s_cbranch_scc1 .LBB7_102
; %bb.117:                              ;   in Loop: Header=BB7_106 Depth=3
	s_mov_b64 s[48:49], s[50:51]
	s_mov_b64 s[50:51], s[52:53]
	s_branch .LBB7_106
.LBB7_118:                              ;   in Loop: Header=BB7_87 Depth=1
	s_or_b64 exec, exec, s[36:37]
.LBB7_119:                              ;   in Loop: Header=BB7_87 Depth=1
	s_and_saveexec_b64 s[34:35], s[0:1]
	s_cbranch_execz .LBB7_86
; %bb.120:                              ;   in Loop: Header=BB7_87 Depth=1
	v_mad_u64_u32 v[6:7], s[0:1], s10, v23, 0
	v_mov_b32_e32 v2, v7
	v_mad_u64_u32 v[7:8], s[0:1], s11, v23, v[2:3]
	ds_read2_b64 v[2:5], v20 offset1:1
	v_mov_b32_e32 v8, s56
	v_lshlrev_b64 v[6:7], 4, v[6:7]
	v_add_co_u32_e32 v6, vcc, s33, v6
	v_addc_co_u32_e32 v7, vcc, v8, v7, vcc
	s_waitcnt lgkmcnt(0)
	global_store_dwordx4 v[6:7], v[2:5], off
	s_branch .LBB7_86
.LBB7_121:
	s_mov_b64 s[0:1], 0
.LBB7_122:
	s_andn2_b64 vcc, exec, s[0:1]
	s_cbranch_vccnz .LBB7_156
; %bb.123:
	s_andn2_b64 vcc, exec, s[6:7]
	s_cbranch_vccnz .LBB7_156
; %bb.124:
	v_mov_b32_e32 v1, 0x2000
	v_mov_b32_e32 v14, 0
	s_add_i32 s28, s17, 0xfffffe00
	v_lshl_or_b32 v20, v0, 4, v1
	s_mov_b32 s26, 0
	s_mov_b32 s27, s17
	v_mov_b32_e32 v1, v14
	v_mov_b32_e32 v21, s15
	s_xor_b64 s[4:5], s[12:13], -1
	s_branch .LBB7_126
.LBB7_125:                              ;   in Loop: Header=BB7_126 Depth=1
	s_or_b64 exec, exec, s[6:7]
	s_add_u32 s27, s27, 0xfffffe00
	s_addc_u32 s26, s26, -1
	s_and_b64 vcc, exec, s[2:3]
	s_mov_b32 s28, s29
	s_waitcnt vmcnt(0)
	s_barrier
	s_cbranch_vccnz .LBB7_156
.LBB7_126:                              ; =>This Loop Header: Depth=1
                                        ;     Child Loop BB7_130 Depth 2
                                        ;     Child Loop BB7_142 Depth 2
                                        ;       Child Loop BB7_145 Depth 3
	v_add_u32_e32 v15, s28, v0
	v_cmp_gt_i32_e32 vcc, 0, v15
	v_cmp_lt_i32_e64 s[0:1], -1, v15
	v_mov_b32_e32 v16, v14
	s_and_saveexec_b64 s[6:7], s[0:1]
	s_cbranch_execz .LBB7_128
; %bb.127:                              ;   in Loop: Header=BB7_126 Depth=1
	v_mad_u64_u32 v[2:3], s[2:3], s10, v15, 0
	v_mad_u64_u32 v[3:4], s[2:3], s11, v15, v[3:4]
	v_mov_b32_e32 v4, s56
	v_lshlrev_b64 v[2:3], 4, v[2:3]
	v_add_co_u32_e64 v2, s[2:3], s33, v2
	v_addc_co_u32_e64 v3, s[2:3], v4, v3, s[2:3]
	global_load_dwordx4 v[2:5], v[2:3], off
	s_waitcnt vmcnt(0)
	ds_write2_b64 v20, v[2:3], v[4:5] offset1:1
.LBB7_128:                              ;   in Loop: Header=BB7_126 Depth=1
	s_or_b64 exec, exec, s[6:7]
	v_add_u32_e32 v4, 1, v15
	v_mad_u64_u32 v[4:5], s[2:3], v15, v4, 0
	v_lshlrev_b64 v[6:7], 4, v[15:16]
	v_ashrrev_i32_e32 v3, 31, v15
	v_mov_b32_e32 v2, v15
	v_add_co_u32_e64 v6, s[2:3], s14, v6
	v_lshlrev_b64 v[2:3], 4, v[2:3]
	v_addc_co_u32_e64 v7, s[2:3], v21, v7, s[2:3]
	v_lshlrev_b64 v[4:5], 3, v[4:5]
	v_add_co_u32_e64 v18, s[2:3], s14, v2
	v_addc_co_u32_e64 v19, s[2:3], v21, v3, s[2:3]
	v_and_b32_e32 v2, -16, v4
	v_add_co_u32_e64 v16, s[2:3], v6, v2
	v_addc_co_u32_e64 v17, s[2:3], v7, v5, s[2:3]
	s_or_b64 s[2:3], s[12:13], vcc
	s_movk_i32 s16, 0x1ff
	s_movk_i32 s17, 0x3ff0
	s_xor_b64 s[6:7], s[2:3], -1
	s_waitcnt lgkmcnt(0)
	s_barrier
	s_branch .LBB7_130
.LBB7_129:                              ;   in Loop: Header=BB7_130 Depth=2
	s_or_b64 exec, exec, s[2:3]
	s_add_i32 s16, s16, -1
	s_add_i32 s17, s17, -16
	s_cmp_eq_u32 s16, -1
	s_cbranch_scc1 .LBB7_138
.LBB7_130:                              ;   Parent Loop BB7_126 Depth=1
                                        ; =>  This Inner Loop Header: Depth=2
	v_cmp_eq_u32_e32 vcc, s16, v0
	s_and_b64 s[8:9], vcc, s[6:7]
	s_and_saveexec_b64 s[2:3], s[8:9]
	s_cbranch_execz .LBB7_136
; %bb.131:                              ;   in Loop: Header=BB7_130 Depth=2
	global_load_dwordx4 v[6:9], v[16:17], off
	ds_read_b128 v[2:5], v20
                                        ; implicit-def: $vgpr10_vgpr11
	s_waitcnt vmcnt(0)
	v_cmp_ngt_f64_e64 s[8:9], |v[6:7]|, |v[8:9]|
	s_and_saveexec_b64 s[18:19], s[8:9]
	s_xor_b64 s[8:9], exec, s[18:19]
	s_cbranch_execz .LBB7_133
; %bb.132:                              ;   in Loop: Header=BB7_130 Depth=2
	v_div_scale_f64 v[10:11], s[18:19], v[8:9], v[8:9], v[6:7]
	v_rcp_f64_e32 v[12:13], v[10:11]
	v_fma_f64 v[22:23], -v[10:11], v[12:13], 1.0
	v_fma_f64 v[12:13], v[12:13], v[22:23], v[12:13]
	v_div_scale_f64 v[22:23], vcc, v[6:7], v[8:9], v[6:7]
	v_fma_f64 v[24:25], -v[10:11], v[12:13], 1.0
	v_fma_f64 v[12:13], v[12:13], v[24:25], v[12:13]
	v_mul_f64 v[24:25], v[22:23], v[12:13]
	v_fma_f64 v[10:11], -v[10:11], v[24:25], v[22:23]
	v_div_fmas_f64 v[10:11], v[10:11], v[12:13], v[24:25]
	v_div_fixup_f64 v[10:11], v[10:11], v[8:9], v[6:7]
	v_fma_f64 v[6:7], v[6:7], v[10:11], v[8:9]
	v_div_scale_f64 v[8:9], s[18:19], v[6:7], v[6:7], 1.0
	v_rcp_f64_e32 v[12:13], v[8:9]
	v_fma_f64 v[22:23], -v[8:9], v[12:13], 1.0
	v_fma_f64 v[12:13], v[12:13], v[22:23], v[12:13]
	v_div_scale_f64 v[22:23], vcc, 1.0, v[6:7], 1.0
	v_fma_f64 v[24:25], -v[8:9], v[12:13], 1.0
	v_fma_f64 v[12:13], v[12:13], v[24:25], v[12:13]
	v_mul_f64 v[24:25], v[22:23], v[12:13]
	v_fma_f64 v[8:9], -v[8:9], v[24:25], v[22:23]
	v_div_fmas_f64 v[8:9], v[8:9], v[12:13], v[24:25]
	s_waitcnt lgkmcnt(0)
	v_fma_f64 v[12:13], v[10:11], v[2:3], v[4:5]
	v_fma_f64 v[2:3], v[10:11], v[4:5], -v[2:3]
	v_div_fixup_f64 v[6:7], v[8:9], v[6:7], 1.0
	v_mul_f64 v[10:11], v[12:13], v[6:7]
	v_mul_f64 v[12:13], v[6:7], v[2:3]
                                        ; implicit-def: $vgpr6_vgpr7
                                        ; implicit-def: $vgpr4_vgpr5
.LBB7_133:                              ;   in Loop: Header=BB7_130 Depth=2
	s_andn2_saveexec_b64 s[8:9], s[8:9]
	s_cbranch_execz .LBB7_135
; %bb.134:                              ;   in Loop: Header=BB7_130 Depth=2
	v_div_scale_f64 v[10:11], s[18:19], v[6:7], v[6:7], v[8:9]
	v_rcp_f64_e32 v[12:13], v[10:11]
	v_fma_f64 v[22:23], -v[10:11], v[12:13], 1.0
	v_fma_f64 v[12:13], v[12:13], v[22:23], v[12:13]
	v_div_scale_f64 v[22:23], vcc, v[8:9], v[6:7], v[8:9]
	v_fma_f64 v[24:25], -v[10:11], v[12:13], 1.0
	v_fma_f64 v[12:13], v[12:13], v[24:25], v[12:13]
	v_mul_f64 v[24:25], v[22:23], v[12:13]
	v_fma_f64 v[10:11], -v[10:11], v[24:25], v[22:23]
	v_div_fmas_f64 v[10:11], v[10:11], v[12:13], v[24:25]
	v_div_fixup_f64 v[10:11], v[10:11], v[6:7], v[8:9]
	v_fma_f64 v[6:7], v[8:9], v[10:11], v[6:7]
	v_div_scale_f64 v[8:9], s[18:19], v[6:7], v[6:7], 1.0
	v_rcp_f64_e32 v[12:13], v[8:9]
	v_fma_f64 v[22:23], -v[8:9], v[12:13], 1.0
	v_fma_f64 v[12:13], v[12:13], v[22:23], v[12:13]
	v_div_scale_f64 v[22:23], vcc, 1.0, v[6:7], 1.0
	v_fma_f64 v[24:25], -v[8:9], v[12:13], 1.0
	v_fma_f64 v[12:13], v[12:13], v[24:25], v[12:13]
	v_mul_f64 v[24:25], v[22:23], v[12:13]
	v_fma_f64 v[8:9], -v[8:9], v[24:25], v[22:23]
	v_div_fmas_f64 v[8:9], v[8:9], v[12:13], v[24:25]
	s_waitcnt lgkmcnt(0)
	v_fma_f64 v[12:13], v[10:11], v[4:5], v[2:3]
	v_fma_f64 v[2:3], -v[10:11], v[2:3], v[4:5]
	v_div_fixup_f64 v[6:7], v[8:9], v[6:7], 1.0
	v_mul_f64 v[10:11], v[6:7], v[12:13]
	v_mul_f64 v[12:13], v[2:3], v[6:7]
.LBB7_135:                              ;   in Loop: Header=BB7_130 Depth=2
	s_or_b64 exec, exec, s[8:9]
	ds_write_b128 v20, v[10:13]
.LBB7_136:                              ;   in Loop: Header=BB7_130 Depth=2
	s_or_b64 exec, exec, s[2:3]
	s_add_i32 s9, s27, s16
	s_add_i32 s8, s9, 0xfffffe00
	s_waitcnt lgkmcnt(1)
	v_or_b32_e32 v2, s8, v15
	v_cmp_gt_u32_e32 vcc, s16, v0
	v_cmp_lt_i32_e64 s[2:3], -1, v2
	s_and_b64 s[18:19], vcc, s[2:3]
	s_waitcnt lgkmcnt(0)
	s_barrier
	s_and_saveexec_b64 s[2:3], s[18:19]
	s_cbranch_execz .LBB7_129
; %bb.137:                              ;   in Loop: Header=BB7_130 Depth=2
	s_add_i32 s18, s9, 0xfffffe01
	s_mul_hi_u32 s9, s18, s8
	s_mul_i32 s8, s18, s8
	s_lshl_b64 s[8:9], s[8:9], 3
	s_and_b32 s8, s8, -16
	v_mov_b32_e32 v3, s9
	v_add_co_u32_e32 v2, vcc, s8, v18
	v_addc_co_u32_e32 v3, vcc, v19, v3, vcc
	global_load_dwordx4 v[2:5], v[2:3], off
	v_mov_b32_e32 v6, s17
	ds_read_b128 v[6:9], v6
	s_waitcnt vmcnt(0) lgkmcnt(0)
	v_mul_f64 v[10:11], v[4:5], v[8:9]
	v_mul_f64 v[8:9], v[2:3], v[8:9]
	v_fma_f64 v[10:11], v[2:3], v[6:7], -v[10:11]
	v_fma_f64 v[6:7], v[4:5], v[6:7], v[8:9]
	ds_read_b128 v[2:5], v20
	s_waitcnt lgkmcnt(0)
	v_add_f64 v[2:3], v[2:3], -v[10:11]
	v_add_f64 v[4:5], v[4:5], -v[6:7]
	ds_write_b128 v20, v[2:5]
	s_branch .LBB7_129
.LBB7_138:                              ;   in Loop: Header=BB7_126 Depth=1
	s_add_i32 s29, s28, 0xfffffe00
	s_cmp_lt_i32 s28, 1
	s_cselect_b64 s[2:3], -1, 0
	s_and_b64 vcc, exec, s[2:3]
	s_waitcnt lgkmcnt(0)
	s_barrier
	s_cbranch_vccnz .LBB7_154
; %bb.139:                              ;   in Loop: Header=BB7_126 Depth=1
	v_mov_b32_e32 v11, v1
	s_mov_b64 s[6:7], 0
	v_mov_b32_e32 v10, v0
	s_mov_b32 s30, s29
                                        ; implicit-def: $sgpr8_sgpr9
	s_branch .LBB7_142
.LBB7_140:                              ;   in Loop: Header=BB7_142 Depth=2
	v_mad_u64_u32 v[2:3], s[18:19], s10, v13, 0
	s_add_i32 s20, s30, 0xfffffe00
	s_cmp_lt_i32 s30, 1
	v_mad_u64_u32 v[3:4], s[18:19], s11, v13, v[3:4]
	v_mov_b32_e32 v4, s56
	s_cselect_b64 s[18:19], -1, 0
	v_lshlrev_b64 v[2:3], 4, v[2:3]
	s_andn2_b64 s[8:9], s[8:9], exec
	v_add_co_u32_e32 v6, vcc, s33, v2
	v_addc_co_u32_e32 v7, vcc, v4, v3, vcc
	global_load_dwordx4 v[2:5], v[6:7], off
	v_add_co_u32_e32 v10, vcc, 0xfffffe00, v10
	s_and_b64 s[18:19], s[18:19], exec
	v_addc_co_u32_e32 v11, vcc, -1, v11, vcc
	s_or_b64 s[8:9], s[8:9], s[18:19]
	s_mov_b32 s30, s20
	s_waitcnt vmcnt(0)
	v_add_f64 v[2:3], v[2:3], -v[18:19]
	v_add_f64 v[4:5], v[4:5], -v[16:17]
	global_store_dwordx4 v[6:7], v[2:5], off
.LBB7_141:                              ;   in Loop: Header=BB7_142 Depth=2
	s_or_b64 exec, exec, s[16:17]
	s_and_b64 s[16:17], exec, s[8:9]
	s_or_b64 s[6:7], s[16:17], s[6:7]
	s_andn2_b64 exec, exec, s[6:7]
	s_cbranch_execz .LBB7_153
.LBB7_142:                              ;   Parent Loop BB7_126 Depth=1
                                        ; =>  This Loop Header: Depth=2
                                        ;       Child Loop BB7_145 Depth 3
	v_add_u32_e32 v13, s30, v0
	v_cmp_lt_i32_e32 vcc, -1, v13
	s_or_b64 s[8:9], s[8:9], exec
	s_and_saveexec_b64 s[16:17], vcc
	s_cbranch_execz .LBB7_141
; %bb.143:                              ;   in Loop: Header=BB7_142 Depth=2
	v_lshlrev_b64 v[2:3], 4, v[13:14]
	v_mov_b32_e32 v4, s15
	v_add_co_u32_e32 v12, vcc, s14, v2
	v_mov_b32_e32 v16, 0
	v_mov_b32_e32 v18, 0
	v_addc_co_u32_e32 v22, vcc, v4, v3, vcc
	v_add_co_u32_e32 v23, vcc, 0xfffffdff, v10
	v_add_co_u32_e32 v24, vcc, 0xfffffe00, v10
	v_mov_b32_e32 v17, 0
	s_movk_i32 s31, 0x2000
	v_mov_b32_e32 v19, 0
	s_mov_b64 s[18:19], 0
	s_branch .LBB7_145
.LBB7_144:                              ;   in Loop: Header=BB7_145 Depth=3
	s_or_b64 exec, exec, s[20:21]
	s_waitcnt lgkmcnt(0)
	v_add_f64 v[4:5], v[16:17], v[4:5]
	v_add_f64 v[2:3], v[18:19], v[2:3]
	s_add_i32 s31, s31, 32
	s_add_u32 s18, s18, 2
	s_addc_u32 s19, s19, 0
	s_cmpk_eq_i32 s18, 0x200
	v_add_f64 v[16:17], v[4:5], v[8:9]
	v_add_f64 v[18:19], v[2:3], v[6:7]
	s_cbranch_scc1 .LBB7_140
.LBB7_145:                              ;   Parent Loop BB7_126 Depth=1
                                        ;     Parent Loop BB7_142 Depth=2
                                        ; =>    This Inner Loop Header: Depth=3
	v_cmp_ne_u32_e32 vcc, s18, v24
	s_or_b64 s[24:25], s[4:5], vcc
                                        ; implicit-def: $vgpr4_vgpr5
                                        ; implicit-def: $sgpr20_sgpr21
                                        ; implicit-def: $sgpr22_sgpr23
	s_and_saveexec_b64 s[34:35], s[24:25]
	s_xor_b64 s[24:25], exec, s[34:35]
	s_cbranch_execz .LBB7_147
; %bb.146:                              ;   in Loop: Header=BB7_145 Depth=3
	s_add_u32 s20, s27, s18
	s_addc_u32 s21, s26, s19
	s_add_u32 s22, s20, 0xfffffe01
	s_addc_u32 s23, s21, 0
	;; [unrolled: 2-line block ×3, first 2 shown]
	s_mul_i32 s35, s22, s35
	s_mul_hi_u32 s36, s22, s34
	s_add_i32 s35, s36, s35
	s_mul_i32 s34, s22, s34
	s_lshl_b64 s[34:35], s[34:35], 3
	s_and_b32 s34, s34, -16
	v_mov_b32_e32 v3, s35
	v_add_co_u32_e32 v2, vcc, s34, v12
	v_addc_co_u32_e32 v3, vcc, v22, v3, vcc
	global_load_dwordx4 v[2:5], v[2:3], off
	v_mov_b32_e32 v6, s31
	ds_read_b128 v[6:9], v6
	s_waitcnt vmcnt(0) lgkmcnt(0)
	v_mul_f64 v[25:26], v[4:5], v[8:9]
	v_mul_f64 v[8:9], v[2:3], v[8:9]
	v_fma_f64 v[2:3], v[2:3], v[6:7], -v[25:26]
	v_fma_f64 v[4:5], v[4:5], v[6:7], v[8:9]
.LBB7_147:                              ;   in Loop: Header=BB7_145 Depth=3
	s_or_saveexec_b64 s[24:25], s[24:25]
	v_mov_b32_e32 v6, s22
	v_mov_b32_e32 v7, s23
	;; [unrolled: 1-line block ×4, first 2 shown]
	s_xor_b64 exec, exec, s[24:25]
	s_cbranch_execz .LBB7_149
; %bb.148:                              ;   in Loop: Header=BB7_145 Depth=3
	v_mov_b32_e32 v2, s31
	s_add_u32 s20, s27, s18
	ds_read_b128 v[2:5], v2
	s_addc_u32 s21, s26, s19
	s_add_u32 s22, s20, 0xfffffe01
	s_addc_u32 s23, s21, 0
	v_mov_b32_e32 v6, s22
	v_mov_b32_e32 v7, s23
	;; [unrolled: 1-line block ×4, first 2 shown]
.LBB7_149:                              ;   in Loop: Header=BB7_145 Depth=3
	s_or_b64 exec, exec, s[24:25]
	v_cmp_ne_u32_e32 vcc, s18, v23
	s_or_b64 s[20:21], s[4:5], vcc
                                        ; implicit-def: $vgpr8_vgpr9
	s_and_saveexec_b64 s[22:23], s[20:21]
	s_xor_b64 s[20:21], exec, s[22:23]
	s_cbranch_execz .LBB7_151
; %bb.150:                              ;   in Loop: Header=BB7_145 Depth=3
	v_add_u32_e32 v7, 0xfffffe02, v7
	v_mad_u64_u32 v[6:7], s[22:23], v7, v6, 0
	v_mov_b32_e32 v25, s31
	ds_read_b128 v[25:28], v25 offset:16
	v_lshlrev_b64 v[6:7], 3, v[6:7]
	v_and_b32_e32 v6, -16, v6
	v_add_co_u32_e32 v6, vcc, v12, v6
	v_addc_co_u32_e32 v7, vcc, v22, v7, vcc
	global_load_dwordx4 v[6:9], v[6:7], off
	s_waitcnt vmcnt(0) lgkmcnt(0)
	v_mul_f64 v[29:30], v[8:9], v[27:28]
	v_mul_f64 v[27:28], v[6:7], v[27:28]
	v_fma_f64 v[6:7], v[6:7], v[25:26], -v[29:30]
	v_fma_f64 v[8:9], v[8:9], v[25:26], v[27:28]
.LBB7_151:                              ;   in Loop: Header=BB7_145 Depth=3
	s_andn2_saveexec_b64 s[20:21], s[20:21]
	s_cbranch_execz .LBB7_144
; %bb.152:                              ;   in Loop: Header=BB7_145 Depth=3
	v_mov_b32_e32 v6, s31
	ds_read_b128 v[6:9], v6 offset:16
	s_branch .LBB7_144
.LBB7_153:                              ;   in Loop: Header=BB7_126 Depth=1
	s_or_b64 exec, exec, s[6:7]
.LBB7_154:                              ;   in Loop: Header=BB7_126 Depth=1
	s_and_saveexec_b64 s[6:7], s[0:1]
	s_cbranch_execz .LBB7_125
; %bb.155:                              ;   in Loop: Header=BB7_126 Depth=1
	v_mad_u64_u32 v[6:7], s[0:1], s10, v15, 0
	v_mov_b32_e32 v2, v7
	v_mad_u64_u32 v[7:8], s[0:1], s11, v15, v[2:3]
	ds_read2_b64 v[2:5], v20 offset1:1
	v_mov_b32_e32 v8, s56
	v_lshlrev_b64 v[6:7], 4, v[6:7]
	v_add_co_u32_e32 v6, vcc, s33, v6
	v_addc_co_u32_e32 v7, vcc, v8, v7, vcc
	s_waitcnt lgkmcnt(0)
	global_store_dwordx4 v[6:7], v[2:5], off
	s_branch .LBB7_125
.LBB7_156:
	s_endpgm
	.section	.rodata,"a",@progbits
	.p2align	6, 0x0
	.amdhsa_kernel _ZL19rocblas_tpsv_kernelILb0ELi512EPK19rocblas_complex_numIdEPS1_Ev18rocblas_operation_bbiT1_llT2_lll
		.amdhsa_group_segment_fixed_size 16384
		.amdhsa_private_segment_fixed_size 0
		.amdhsa_kernarg_size 72
		.amdhsa_user_sgpr_count 6
		.amdhsa_user_sgpr_private_segment_buffer 1
		.amdhsa_user_sgpr_dispatch_ptr 0
		.amdhsa_user_sgpr_queue_ptr 0
		.amdhsa_user_sgpr_kernarg_segment_ptr 1
		.amdhsa_user_sgpr_dispatch_id 0
		.amdhsa_user_sgpr_flat_scratch_init 0
		.amdhsa_user_sgpr_private_segment_size 0
		.amdhsa_uses_dynamic_stack 0
		.amdhsa_system_sgpr_private_segment_wavefront_offset 0
		.amdhsa_system_sgpr_workgroup_id_x 1
		.amdhsa_system_sgpr_workgroup_id_y 0
		.amdhsa_system_sgpr_workgroup_id_z 0
		.amdhsa_system_sgpr_workgroup_info 0
		.amdhsa_system_vgpr_workitem_id 0
		.amdhsa_next_free_vgpr 42
		.amdhsa_next_free_sgpr 66
		.amdhsa_reserve_vcc 1
		.amdhsa_reserve_flat_scratch 0
		.amdhsa_float_round_mode_32 0
		.amdhsa_float_round_mode_16_64 0
		.amdhsa_float_denorm_mode_32 3
		.amdhsa_float_denorm_mode_16_64 3
		.amdhsa_dx10_clamp 1
		.amdhsa_ieee_mode 1
		.amdhsa_fp16_overflow 0
		.amdhsa_exception_fp_ieee_invalid_op 0
		.amdhsa_exception_fp_denorm_src 0
		.amdhsa_exception_fp_ieee_div_zero 0
		.amdhsa_exception_fp_ieee_overflow 0
		.amdhsa_exception_fp_ieee_underflow 0
		.amdhsa_exception_fp_ieee_inexact 0
		.amdhsa_exception_int_div_zero 0
	.end_amdhsa_kernel
	.section	.text._ZL19rocblas_tpsv_kernelILb0ELi512EPK19rocblas_complex_numIdEPS1_Ev18rocblas_operation_bbiT1_llT2_lll,"axG",@progbits,_ZL19rocblas_tpsv_kernelILb0ELi512EPK19rocblas_complex_numIdEPS1_Ev18rocblas_operation_bbiT1_llT2_lll,comdat
.Lfunc_end7:
	.size	_ZL19rocblas_tpsv_kernelILb0ELi512EPK19rocblas_complex_numIdEPS1_Ev18rocblas_operation_bbiT1_llT2_lll, .Lfunc_end7-_ZL19rocblas_tpsv_kernelILb0ELi512EPK19rocblas_complex_numIdEPS1_Ev18rocblas_operation_bbiT1_llT2_lll
                                        ; -- End function
	.set _ZL19rocblas_tpsv_kernelILb0ELi512EPK19rocblas_complex_numIdEPS1_Ev18rocblas_operation_bbiT1_llT2_lll.num_vgpr, 42
	.set _ZL19rocblas_tpsv_kernelILb0ELi512EPK19rocblas_complex_numIdEPS1_Ev18rocblas_operation_bbiT1_llT2_lll.num_agpr, 0
	.set _ZL19rocblas_tpsv_kernelILb0ELi512EPK19rocblas_complex_numIdEPS1_Ev18rocblas_operation_bbiT1_llT2_lll.numbered_sgpr, 66
	.set _ZL19rocblas_tpsv_kernelILb0ELi512EPK19rocblas_complex_numIdEPS1_Ev18rocblas_operation_bbiT1_llT2_lll.num_named_barrier, 0
	.set _ZL19rocblas_tpsv_kernelILb0ELi512EPK19rocblas_complex_numIdEPS1_Ev18rocblas_operation_bbiT1_llT2_lll.private_seg_size, 0
	.set _ZL19rocblas_tpsv_kernelILb0ELi512EPK19rocblas_complex_numIdEPS1_Ev18rocblas_operation_bbiT1_llT2_lll.uses_vcc, 1
	.set _ZL19rocblas_tpsv_kernelILb0ELi512EPK19rocblas_complex_numIdEPS1_Ev18rocblas_operation_bbiT1_llT2_lll.uses_flat_scratch, 0
	.set _ZL19rocblas_tpsv_kernelILb0ELi512EPK19rocblas_complex_numIdEPS1_Ev18rocblas_operation_bbiT1_llT2_lll.has_dyn_sized_stack, 0
	.set _ZL19rocblas_tpsv_kernelILb0ELi512EPK19rocblas_complex_numIdEPS1_Ev18rocblas_operation_bbiT1_llT2_lll.has_recursion, 0
	.set _ZL19rocblas_tpsv_kernelILb0ELi512EPK19rocblas_complex_numIdEPS1_Ev18rocblas_operation_bbiT1_llT2_lll.has_indirect_call, 0
	.section	.AMDGPU.csdata,"",@progbits
; Kernel info:
; codeLenInByte = 7816
; TotalNumSgprs: 70
; NumVgprs: 42
; ScratchSize: 0
; MemoryBound: 0
; FloatMode: 240
; IeeeMode: 1
; LDSByteSize: 16384 bytes/workgroup (compile time only)
; SGPRBlocks: 8
; VGPRBlocks: 10
; NumSGPRsForWavesPerEU: 70
; NumVGPRsForWavesPerEU: 42
; Occupancy: 5
; WaveLimiterHint : 0
; COMPUTE_PGM_RSRC2:SCRATCH_EN: 0
; COMPUTE_PGM_RSRC2:USER_SGPR: 6
; COMPUTE_PGM_RSRC2:TRAP_HANDLER: 0
; COMPUTE_PGM_RSRC2:TGID_X_EN: 1
; COMPUTE_PGM_RSRC2:TGID_Y_EN: 0
; COMPUTE_PGM_RSRC2:TGID_Z_EN: 0
; COMPUTE_PGM_RSRC2:TIDIG_COMP_CNT: 0
	.section	.text._ZL19rocblas_tpsv_kernelILb1ELi512EPKPKfPKPfEv18rocblas_operation_bbiT1_llT2_lll,"axG",@progbits,_ZL19rocblas_tpsv_kernelILb1ELi512EPKPKfPKPfEv18rocblas_operation_bbiT1_llT2_lll,comdat
	.globl	_ZL19rocblas_tpsv_kernelILb1ELi512EPKPKfPKPfEv18rocblas_operation_bbiT1_llT2_lll ; -- Begin function _ZL19rocblas_tpsv_kernelILb1ELi512EPKPKfPKPfEv18rocblas_operation_bbiT1_llT2_lll
	.p2align	8
	.type	_ZL19rocblas_tpsv_kernelILb1ELi512EPKPKfPKPfEv18rocblas_operation_bbiT1_llT2_lll,@function
_ZL19rocblas_tpsv_kernelILb1ELi512EPKPKfPKPfEv18rocblas_operation_bbiT1_llT2_lll: ; @_ZL19rocblas_tpsv_kernelILb1ELi512EPKPKfPKPfEv18rocblas_operation_bbiT1_llT2_lll
; %bb.0:
	s_load_dwordx2 s[22:23], s[4:5], 0x0
	s_load_dwordx2 s[14:15], s[4:5], 0x4
	s_load_dwordx4 s[0:3], s[4:5], 0x10
	s_load_dwordx2 s[24:25], s[4:5], 0x28
	s_mov_b32 s7, 0
	s_waitcnt lgkmcnt(0)
	s_bitcmp1_b32 s23, 0
	s_cselect_b64 s[8:9], -1, 0
	s_xor_b64 s[20:21], s[8:9], -1
	s_bitcmp1_b32 s14, 8
	s_cselect_b64 s[12:13], -1, 0
	s_lshl_b64 s[26:27], s[6:7], 3
	s_add_u32 s0, s0, s26
	s_addc_u32 s1, s1, s27
	s_load_dwordx2 s[16:17], s[0:1], 0x0
	s_load_dwordx4 s[8:11], s[4:5], 0x30
	s_lshl_b64 s[18:19], s[2:3], 2
	s_waitcnt lgkmcnt(0)
	s_add_u32 s6, s16, s18
	s_addc_u32 s7, s17, s19
	s_add_u32 s0, s24, s26
	s_addc_u32 s1, s25, s27
	s_load_dwordx2 s[0:1], s[0:1], 0x0
	s_lshl_b64 s[2:3], s[8:9], 2
	s_waitcnt lgkmcnt(0)
	s_add_u32 s33, s0, s2
	s_addc_u32 s56, s1, s3
	s_cmp_gt_i32 s15, 0
	s_cselect_b64 s[8:9], -1, 0
	s_cmpk_lg_i32 s22, 0x6f
	s_mov_b64 s[0:1], -1
	s_cbranch_scc0 .LBB8_93
; %bb.1:
	s_and_b64 vcc, exec, s[20:21]
	s_cbranch_vccz .LBB8_44
; %bb.2:
	s_andn2_b64 vcc, exec, s[8:9]
	s_cbranch_vccnz .LBB8_43
; %bb.3:
	v_lshlrev_b32_e32 v1, 2, v0
	v_or_b32_e32 v5, 0x1800, v1
	v_mov_b32_e32 v2, s19
	v_sub_co_u32_e32 v1, vcc, s18, v1
	v_subbrev_co_u32_e32 v2, vcc, 0, v2, vcc
	v_mov_b32_e32 v3, s17
	v_add_co_u32_e32 v1, vcc, s16, v1
	v_addc_co_u32_e32 v2, vcc, v3, v2, vcc
	s_movk_i32 s0, 0x7fc
	s_lshl_b32 s2, s15, 1
	v_add_co_u32_e32 v6, vcc, s0, v1
	s_ashr_i32 s1, s15, 31
	s_mov_b32 s0, s15
	s_add_i32 s26, s15, 0xfffffe00
	s_or_b32 s14, s2, 1
	s_lshl_b64 s[0:1], s[0:1], 2
	s_add_u32 s0, s18, s0
	s_addc_u32 s1, s19, s1
	s_add_u32 s0, s16, s0
	v_sub_u32_e32 v1, s15, v0
	s_addc_u32 s1, s17, s1
	v_add_u32_e32 v8, 0x201, v1
	v_add_u32_e32 v1, s15, v0
	s_add_u32 s4, s0, 0xfffff800
	v_addc_co_u32_e32 v7, vcc, 0, v2, vcc
	v_add_u32_e32 v9, 0xfffffe00, v1
	v_add_u32_e32 v10, 0xfffffe01, v0
	s_addc_u32 s5, s1, -1
	v_add_u32_e32 v11, 0xfffffc00, v1
	s_ashr_i32 s34, s2, 31
	v_mov_b32_e32 v12, s7
	s_movk_i32 s35, 0x400
	s_movk_i32 s36, 0x401
	;; [unrolled: 1-line block ×5, first 2 shown]
	s_branch .LBB8_5
.LBB8_4:                                ;   in Loop: Header=BB8_5 Depth=1
	s_or_b64 exec, exec, s[22:23]
	s_add_u32 s4, s4, 0xfffff800
	v_add_u32_e32 v8, 0x200, v8
	v_add_u32_e32 v9, 0xfffffe00, v9
	s_addc_u32 s5, s5, -1
	v_add_u32_e32 v11, 0xfffffe00, v11
	s_andn2_b64 vcc, exec, s[2:3]
	s_mov_b32 s26, s40
	s_waitcnt vmcnt(0) lgkmcnt(0)
	s_barrier
	s_cbranch_vccz .LBB8_43
.LBB8_5:                                ; =>This Loop Header: Depth=1
                                        ;     Child Loop BB8_9 Depth 2
                                        ;     Child Loop BB8_21 Depth 2
                                        ;       Child Loop BB8_24 Depth 3
	v_add_u32_e32 v13, s26, v0
	v_cmp_gt_i32_e32 vcc, 0, v13
	v_cmp_lt_i32_e64 s[0:1], -1, v13
	s_and_saveexec_b64 s[22:23], s[0:1]
	s_cbranch_execz .LBB8_7
; %bb.6:                                ;   in Loop: Header=BB8_5 Depth=1
	v_mad_u64_u32 v[1:2], s[2:3], s10, v13, 0
	v_mad_u64_u32 v[2:3], s[2:3], s11, v13, v[2:3]
	v_mov_b32_e32 v3, s56
	v_lshlrev_b64 v[1:2], 2, v[1:2]
	v_add_co_u32_e64 v1, s[2:3], s33, v1
	v_addc_co_u32_e64 v2, s[2:3], v3, v2, s[2:3]
	flat_load_dword v1, v[1:2]
	s_waitcnt vmcnt(0) lgkmcnt(0)
	ds_write_b32 v5, v1
.LBB8_7:                                ;   in Loop: Header=BB8_5 Depth=1
	s_or_b64 exec, exec, s[22:23]
	v_mad_u64_u32 v[1:2], s[2:3], v8, v9, 0
	v_ashrrev_i32_e32 v3, 31, v8
	v_sub_u32_e32 v14, s14, v13
	v_mad_u64_u32 v[2:3], s[2:3], v3, v9, v[2:3]
	v_mad_u64_u32 v[3:4], s[2:3], v14, v13, 0
	v_lshlrev_b64 v[1:2], 1, v[1:2]
	v_ashrrev_i32_e32 v14, 31, v14
	v_and_b32_e32 v1, -4, v1
	v_add_co_u32_e64 v1, s[2:3], v6, v1
	v_addc_co_u32_e64 v2, s[2:3], v7, v2, s[2:3]
	v_mad_u64_u32 v[14:15], s[2:3], v14, v13, v[4:5]
	s_not_b32 s2, s26
	s_movk_i32 s27, 0x1ff
	v_mov_b32_e32 v4, v14
	v_lshlrev_b64 v[3:4], 1, v[3:4]
	v_max_i32_e32 v14, s2, v0
	v_and_b32_e32 v3, -4, v3
	v_add_co_u32_e64 v3, s[2:3], s6, v3
	v_addc_co_u32_e64 v4, s[2:3], v12, v4, s[2:3]
	s_or_b64 s[2:3], vcc, s[12:13]
	s_movk_i32 s28, 0x1ff8
	s_xor_b64 s[2:3], s[2:3], -1
	s_xor_b64 s[22:23], vcc, -1
	v_mov_b32_e32 v15, v10
	s_waitcnt lgkmcnt(0)
	s_barrier
	s_branch .LBB8_9
.LBB8_8:                                ;   in Loop: Header=BB8_9 Depth=2
	s_or_b64 exec, exec, s[24:25]
	s_add_i32 s27, s27, -2
	v_add_co_u32_e32 v1, vcc, -8, v1
	s_add_i32 s28, s28, -8
	v_addc_co_u32_e32 v2, vcc, -1, v2, vcc
	s_cmp_eq_u32 s29, 0
	v_add_u32_e32 v15, 2, v15
	s_cbranch_scc1 .LBB8_17
.LBB8_9:                                ;   Parent Loop BB8_5 Depth=1
                                        ; =>  This Inner Loop Header: Depth=2
	v_cmp_eq_u32_e32 vcc, 0, v15
	s_and_b64 s[30:31], vcc, s[2:3]
	s_and_saveexec_b64 s[24:25], s[30:31]
	s_cbranch_execz .LBB8_11
; %bb.10:                               ;   in Loop: Header=BB8_9 Depth=2
	flat_load_dword v16, v[3:4]
	ds_read_b32 v17, v5
	s_waitcnt vmcnt(0) lgkmcnt(0)
	v_div_scale_f32 v18, s[30:31], v16, v16, v17
	v_div_scale_f32 v19, vcc, v17, v16, v17
	v_rcp_f32_e32 v20, v18
	v_fma_f32 v21, -v18, v20, 1.0
	v_fmac_f32_e32 v20, v21, v20
	v_mul_f32_e32 v21, v19, v20
	v_fma_f32 v22, -v18, v21, v19
	v_fmac_f32_e32 v21, v22, v20
	v_fma_f32 v18, -v18, v21, v19
	v_div_fmas_f32 v18, v18, v20, v21
	v_div_fixup_f32 v16, v18, v16, v17
	ds_write_b32 v5, v16
.LBB8_11:                               ;   in Loop: Header=BB8_9 Depth=2
	s_or_b64 exec, exec, s[24:25]
	v_cmp_gt_u32_e32 vcc, s27, v14
	s_and_b64 s[30:31], s[22:23], vcc
	s_waitcnt lgkmcnt(0)
	s_barrier
	s_and_saveexec_b64 s[24:25], s[30:31]
	s_cbranch_execz .LBB8_13
; %bb.12:                               ;   in Loop: Header=BB8_9 Depth=2
	flat_load_dword v16, v[1:2]
	v_mov_b32_e32 v17, s28
	ds_read_b32 v17, v17 offset:4
	ds_read_b32 v18, v5
	s_waitcnt vmcnt(0) lgkmcnt(0)
	v_fma_f32 v16, -v16, v17, v18
	ds_write_b32 v5, v16
.LBB8_13:                               ;   in Loop: Header=BB8_9 Depth=2
	s_or_b64 exec, exec, s[24:25]
	s_add_i32 s29, s27, -1
	v_cmp_eq_u32_e32 vcc, s29, v0
	s_and_b64 s[30:31], vcc, s[2:3]
	s_and_saveexec_b64 s[24:25], s[30:31]
	s_cbranch_execz .LBB8_15
; %bb.14:                               ;   in Loop: Header=BB8_9 Depth=2
	flat_load_dword v16, v[3:4]
	ds_read_b32 v17, v5
	s_waitcnt vmcnt(0) lgkmcnt(0)
	v_div_scale_f32 v18, s[30:31], v16, v16, v17
	v_div_scale_f32 v19, vcc, v17, v16, v17
	v_rcp_f32_e32 v20, v18
	v_fma_f32 v21, -v18, v20, 1.0
	v_fmac_f32_e32 v20, v21, v20
	v_mul_f32_e32 v21, v19, v20
	v_fma_f32 v22, -v18, v21, v19
	v_fmac_f32_e32 v21, v22, v20
	v_fma_f32 v18, -v18, v21, v19
	v_div_fmas_f32 v18, v18, v20, v21
	v_div_fixup_f32 v16, v18, v16, v17
	ds_write_b32 v5, v16
.LBB8_15:                               ;   in Loop: Header=BB8_9 Depth=2
	s_or_b64 exec, exec, s[24:25]
	v_cmp_gt_u32_e32 vcc, s29, v14
	s_and_b64 s[30:31], s[22:23], vcc
	s_waitcnt lgkmcnt(0)
	s_barrier
	s_and_saveexec_b64 s[24:25], s[30:31]
	s_cbranch_execz .LBB8_8
; %bb.16:                               ;   in Loop: Header=BB8_9 Depth=2
	v_add_co_u32_e32 v16, vcc, -4, v1
	v_addc_co_u32_e32 v17, vcc, -1, v2, vcc
	flat_load_dword v16, v[16:17]
	v_mov_b32_e32 v17, s28
	ds_read_b32 v17, v17
	ds_read_b32 v18, v5
	s_waitcnt vmcnt(0) lgkmcnt(0)
	v_fma_f32 v16, -v16, v17, v18
	ds_write_b32 v5, v16
	s_branch .LBB8_8
.LBB8_17:                               ;   in Loop: Header=BB8_5 Depth=1
	s_add_i32 s40, s26, 0xfffffe00
	s_cmp_lt_i32 s26, 1
	s_cselect_b64 s[2:3], -1, 0
	s_and_b64 vcc, exec, s[2:3]
	s_waitcnt lgkmcnt(0)
	s_barrier
	s_cbranch_vccnz .LBB8_41
; %bb.18:                               ;   in Loop: Header=BB8_5 Depth=1
	v_mad_i64_i32 v[1:2], s[22:23], v11, -4, s[4:5]
	v_ashrrev_i32_e32 v3, 31, v11
	v_mov_b32_e32 v4, s34
	v_sub_co_u32_e32 v14, vcc, s14, v11
	v_subb_co_u32_e32 v15, vcc, v4, v3, vcc
	s_mov_b64 s[22:23], 0
	v_mov_b32_e32 v16, v11
	v_mov_b32_e32 v17, v0
	s_mov_b32 s41, s40
                                        ; implicit-def: $sgpr24_sgpr25
	s_branch .LBB8_21
.LBB8_19:                               ;   in Loop: Header=BB8_21 Depth=2
	v_mad_u64_u32 v[3:4], s[28:29], s10, v19, 0
	s_add_i32 s30, s41, 0xfffffe00
	s_cmp_lt_i32 s41, 1
	v_mad_u64_u32 v[19:20], s[28:29], s11, v19, v[4:5]
	v_mov_b32_e32 v20, s56
	s_cselect_b64 s[28:29], -1, 0
	v_mov_b32_e32 v4, v19
	v_lshlrev_b64 v[3:4], 2, v[3:4]
	s_andn2_b64 s[24:25], s[24:25], exec
	v_add_co_u32_e32 v3, vcc, s33, v3
	v_addc_co_u32_e32 v4, vcc, v20, v4, vcc
	flat_load_dword v19, v[3:4]
	v_add_co_u32_e32 v1, vcc, s39, v1
	v_addc_co_u32_e32 v2, vcc, 0, v2, vcc
	v_add_co_u32_e32 v14, vcc, 0x200, v14
	s_and_b64 s[28:29], s[28:29], exec
	v_add_u32_e32 v17, 0xfffffe00, v17
	v_add_u32_e32 v16, 0xfffffe00, v16
	v_addc_co_u32_e32 v15, vcc, 0, v15, vcc
	s_or_b64 s[24:25], s[24:25], s[28:29]
	s_mov_b32 s41, s30
	s_waitcnt vmcnt(0) lgkmcnt(0)
	v_sub_f32_e32 v18, v19, v18
	flat_store_dword v[3:4], v18
.LBB8_20:                               ;   in Loop: Header=BB8_21 Depth=2
	s_or_b64 exec, exec, s[26:27]
	s_and_b64 s[26:27], exec, s[24:25]
	s_or_b64 s[22:23], s[26:27], s[22:23]
	s_andn2_b64 exec, exec, s[22:23]
	s_cbranch_execz .LBB8_40
.LBB8_21:                               ;   Parent Loop BB8_5 Depth=1
                                        ; =>  This Loop Header: Depth=2
                                        ;       Child Loop BB8_24 Depth 3
	v_add_u32_e32 v19, s41, v0
	v_cmp_lt_i32_e32 vcc, -1, v19
	s_or_b64 s[24:25], s[24:25], exec
	s_and_saveexec_b64 s[26:27], vcc
	s_cbranch_execz .LBB8_20
; %bb.22:                               ;   in Loop: Header=BB8_21 Depth=2
	v_mad_u64_u32 v[3:4], s[28:29], v14, v16, 0
	v_mov_b32_e32 v18, 0
	s_movk_i32 s42, 0x1800
	v_mad_u64_u32 v[20:21], s[28:29], v15, v16, v[4:5]
	s_movk_i32 s43, 0x200
	v_mov_b32_e32 v4, v20
	v_lshlrev_b64 v[3:4], 1, v[3:4]
	v_and_b32_e32 v3, -4, v3
	v_add_co_u32_e32 v3, vcc, v1, v3
	v_addc_co_u32_e32 v4, vcc, v2, v4, vcc
	s_branch .LBB8_24
.LBB8_23:                               ;   in Loop: Header=BB8_24 Depth=3
	s_or_b64 exec, exec, s[28:29]
	s_waitcnt lgkmcnt(0)
	v_add_f32_e32 v18, v18, v20
	v_add_f32_e32 v18, v18, v22
	;; [unrolled: 1-line block ×3, first 2 shown]
	s_add_i32 s42, s42, 16
	s_add_i32 s43, s43, -4
	v_add_co_u32_e32 v3, vcc, 16, v3
	v_add_f32_e32 v18, v18, v21
	s_cmp_eq_u32 s43, 0
	v_addc_co_u32_e32 v4, vcc, 0, v4, vcc
	s_cbranch_scc1 .LBB8_19
.LBB8_24:                               ;   Parent Loop BB8_5 Depth=1
                                        ;     Parent Loop BB8_21 Depth=2
                                        ; =>    This Inner Loop Header: Depth=3
	v_add_u32_e32 v21, s43, v17
	v_cmp_ne_u32_e32 vcc, s35, v21
	s_xor_b64 s[28:29], s[12:13], -1
	s_or_b64 s[30:31], s[28:29], vcc
                                        ; implicit-def: $vgpr20
	s_and_saveexec_b64 s[44:45], s[30:31]
	s_xor_b64 s[30:31], exec, s[44:45]
	s_cbranch_execz .LBB8_26
; %bb.25:                               ;   in Loop: Header=BB8_24 Depth=3
	flat_load_dword v20, v[3:4]
	v_mov_b32_e32 v22, s42
	ds_read_b32 v22, v22
	s_waitcnt vmcnt(0) lgkmcnt(0)
	v_mul_f32_e32 v20, v20, v22
.LBB8_26:                               ;   in Loop: Header=BB8_24 Depth=3
	s_andn2_saveexec_b64 s[30:31], s[30:31]
; %bb.27:                               ;   in Loop: Header=BB8_24 Depth=3
	v_mov_b32_e32 v20, s42
	ds_read_b32 v20, v20
; %bb.28:                               ;   in Loop: Header=BB8_24 Depth=3
	s_or_b64 exec, exec, s[30:31]
	v_cmp_ne_u32_e32 vcc, s36, v21
	s_or_b64 s[30:31], s[28:29], vcc
                                        ; implicit-def: $vgpr22
	s_and_saveexec_b64 s[44:45], s[30:31]
	s_xor_b64 s[30:31], exec, s[44:45]
	s_cbranch_execz .LBB8_30
; %bb.29:                               ;   in Loop: Header=BB8_24 Depth=3
	flat_load_dword v22, v[3:4] offset:4
	v_mov_b32_e32 v23, s42
	ds_read_b32 v23, v23 offset:4
	s_waitcnt vmcnt(0) lgkmcnt(0)
	v_mul_f32_e32 v22, v22, v23
.LBB8_30:                               ;   in Loop: Header=BB8_24 Depth=3
	s_andn2_saveexec_b64 s[30:31], s[30:31]
; %bb.31:                               ;   in Loop: Header=BB8_24 Depth=3
	v_mov_b32_e32 v22, s42
	ds_read_b32 v22, v22 offset:4
; %bb.32:                               ;   in Loop: Header=BB8_24 Depth=3
	s_or_b64 exec, exec, s[30:31]
	v_cmp_ne_u32_e32 vcc, s37, v21
	s_or_b64 s[30:31], s[28:29], vcc
                                        ; implicit-def: $vgpr23
	s_and_saveexec_b64 s[44:45], s[30:31]
	s_xor_b64 s[30:31], exec, s[44:45]
	s_cbranch_execz .LBB8_34
; %bb.33:                               ;   in Loop: Header=BB8_24 Depth=3
	flat_load_dword v23, v[3:4] offset:8
	v_mov_b32_e32 v24, s42
	ds_read_b32 v24, v24 offset:8
	s_waitcnt vmcnt(0) lgkmcnt(0)
	v_mul_f32_e32 v23, v23, v24
.LBB8_34:                               ;   in Loop: Header=BB8_24 Depth=3
	s_andn2_saveexec_b64 s[30:31], s[30:31]
; %bb.35:                               ;   in Loop: Header=BB8_24 Depth=3
	v_mov_b32_e32 v23, s42
	ds_read_b32 v23, v23 offset:8
; %bb.36:                               ;   in Loop: Header=BB8_24 Depth=3
	s_or_b64 exec, exec, s[30:31]
	v_cmp_ne_u32_e32 vcc, s38, v21
	s_or_b64 s[28:29], s[28:29], vcc
                                        ; implicit-def: $vgpr21
	s_and_saveexec_b64 s[30:31], s[28:29]
	s_xor_b64 s[28:29], exec, s[30:31]
	s_cbranch_execz .LBB8_38
; %bb.37:                               ;   in Loop: Header=BB8_24 Depth=3
	flat_load_dword v21, v[3:4] offset:12
	v_mov_b32_e32 v24, s42
	ds_read_b32 v24, v24 offset:12
	s_waitcnt vmcnt(0) lgkmcnt(0)
	v_mul_f32_e32 v21, v21, v24
.LBB8_38:                               ;   in Loop: Header=BB8_24 Depth=3
	s_andn2_saveexec_b64 s[28:29], s[28:29]
	s_cbranch_execz .LBB8_23
; %bb.39:                               ;   in Loop: Header=BB8_24 Depth=3
	v_mov_b32_e32 v21, s42
	ds_read_b32 v21, v21 offset:12
	s_branch .LBB8_23
.LBB8_40:                               ;   in Loop: Header=BB8_5 Depth=1
	s_or_b64 exec, exec, s[22:23]
.LBB8_41:                               ;   in Loop: Header=BB8_5 Depth=1
	s_and_saveexec_b64 s[22:23], s[0:1]
	s_cbranch_execz .LBB8_4
; %bb.42:                               ;   in Loop: Header=BB8_5 Depth=1
	v_mad_u64_u32 v[1:2], s[0:1], s10, v13, 0
	v_mov_b32_e32 v4, s56
	v_mad_u64_u32 v[2:3], s[0:1], s11, v13, v[2:3]
	ds_read_b32 v3, v5
	v_lshlrev_b64 v[1:2], 2, v[1:2]
	v_add_co_u32_e32 v1, vcc, s33, v1
	v_addc_co_u32_e32 v2, vcc, v4, v2, vcc
	s_waitcnt lgkmcnt(0)
	flat_store_dword v[1:2], v3
	s_branch .LBB8_4
.LBB8_43:
	s_mov_b64 s[0:1], 0
.LBB8_44:
	s_andn2_b64 vcc, exec, s[0:1]
	s_cbranch_vccnz .LBB8_92
; %bb.45:
	s_andn2_b64 vcc, exec, s[8:9]
	s_cbranch_vccnz .LBB8_92
; %bb.46:
	v_mov_b32_e32 v1, 0x800
	v_mov_b32_e32 v2, 0
	v_lshl_or_b32 v13, v0, 2, v1
	v_mov_b32_e32 v1, v2
	v_mad_u64_u32 v[3:4], s[0:1], v0, v0, v[0:1]
	v_lshlrev_b32_e32 v1, 10, v0
	v_add_co_u32_e32 v7, vcc, 0x40200, v1
	v_or_b32_e32 v1, 0x200, v0
	v_mov_b32_e32 v6, v2
	v_addc_co_u32_e64 v8, s[0:1], 0, 0, vcc
	s_mov_b32 s14, 0
	v_add_u32_e32 v14, 0x201, v0
	v_mov_b32_e32 v15, s7
	s_xor_b64 s[22:23], s[12:13], -1
	v_mov_b32_e32 v5, v1
	s_mov_b64 s[24:25], s[6:7]
	s_branch .LBB8_48
.LBB8_47:                               ;   in Loop: Header=BB8_48 Depth=1
	s_or_b64 exec, exec, s[4:5]
	v_add_co_u32_e32 v9, vcc, 0x80000, v7
	v_addc_co_u32_e32 v10, vcc, 0, v8, vcc
	v_add_co_u32_e32 v3, vcc, v3, v7
	v_addc_co_u32_e32 v4, vcc, v4, v8, vcc
	v_add_co_u32_e32 v5, vcc, 0x200, v5
	s_add_u32 s24, s24, 0x800
	v_addc_co_u32_e32 v6, vcc, 0, v6, vcc
	v_mov_b32_e32 v7, v9
	s_addc_u32 s25, s25, 0
	v_add_u32_e32 v14, 0x200, v14
	s_and_b64 vcc, exec, s[2:3]
	v_mov_b32_e32 v8, v10
	s_mov_b32 s14, s34
	s_waitcnt vmcnt(0) lgkmcnt(0)
	s_barrier
	s_cbranch_vccnz .LBB8_92
.LBB8_48:                               ; =>This Loop Header: Depth=1
                                        ;     Child Loop BB8_52 Depth 2
                                        ;     Child Loop BB8_66 Depth 2
                                        ;       Child Loop BB8_69 Depth 3
	v_add_u32_e32 v16, s14, v0
	v_cmp_le_i32_e32 vcc, s15, v16
	v_cmp_gt_i32_e64 s[0:1], s15, v16
	s_and_saveexec_b64 s[4:5], s[0:1]
	s_cbranch_execz .LBB8_50
; %bb.49:                               ;   in Loop: Header=BB8_48 Depth=1
	v_mad_u64_u32 v[9:10], s[2:3], s10, v16, 0
	v_mov_b32_e32 v1, v10
	v_mad_u64_u32 v[10:11], s[2:3], s11, v16, v[1:2]
	v_mov_b32_e32 v1, s56
	v_lshlrev_b64 v[9:10], 2, v[9:10]
	v_add_co_u32_e64 v9, s[2:3], s33, v9
	v_addc_co_u32_e64 v10, s[2:3], v1, v10, s[2:3]
	flat_load_dword v1, v[9:10]
	s_waitcnt vmcnt(0) lgkmcnt(0)
	ds_write_b32 v13, v1
.LBB8_50:                               ;   in Loop: Header=BB8_48 Depth=1
	s_or_b64 exec, exec, s[4:5]
	v_lshlrev_b64 v[9:10], 1, v[3:4]
	v_mov_b32_e32 v17, s25
	v_and_b32_e32 v1, -4, v9
	v_add_co_u32_e64 v9, s[2:3], s24, v1
	v_or_b32_e32 v1, s14, v0
	v_add_u32_e32 v11, 1, v1
	v_addc_co_u32_e64 v10, s[2:3], v17, v10, s[2:3]
	v_mad_u64_u32 v[11:12], s[2:3], v11, v1, 0
	v_cmp_le_i32_e64 s[2:3], s15, v1
	s_mov_b32 s29, 0
	v_lshlrev_b64 v[11:12], 1, v[11:12]
	s_movk_i32 s28, 0x800
	v_and_b32_e32 v11, -4, v11
	v_add_co_u32_e64 v18, s[4:5], s6, v11
	v_addc_co_u32_e64 v19, s[4:5], v15, v12, s[4:5]
	v_lshlrev_b64 v[11:12], 2, v[1:2]
	s_waitcnt lgkmcnt(0)
	v_add_co_u32_e64 v11, s[4:5], v18, v11
	v_addc_co_u32_e64 v12, s[4:5], v19, v12, s[4:5]
	s_xor_b64 s[4:5], vcc, -1
	s_barrier
	s_branch .LBB8_52
.LBB8_51:                               ;   in Loop: Header=BB8_52 Depth=2
	s_or_b64 exec, exec, s[26:27]
	s_add_i32 s28, s28, 8
	s_add_i32 s29, s30, 1
	v_add_co_u32_e32 v9, vcc, 8, v9
	s_cmpk_eq_i32 s29, 0x200
	v_addc_co_u32_e32 v10, vcc, 0, v10, vcc
	s_cbranch_scc1 .LBB8_62
.LBB8_52:                               ;   Parent Loop BB8_48 Depth=1
                                        ; =>  This Inner Loop Header: Depth=2
	v_cmp_ne_u32_e32 vcc, s29, v0
	s_or_b64 s[26:27], s[12:13], vcc
	s_nor_b64 s[30:31], s[26:27], s[2:3]
	s_and_saveexec_b64 s[26:27], s[30:31]
	s_cbranch_execz .LBB8_54
; %bb.53:                               ;   in Loop: Header=BB8_52 Depth=2
	flat_load_dword v1, v[11:12]
	ds_read_b32 v18, v13
	s_waitcnt vmcnt(0) lgkmcnt(0)
	v_div_scale_f32 v19, s[30:31], v1, v1, v18
	v_div_scale_f32 v20, vcc, v18, v1, v18
	v_rcp_f32_e32 v21, v19
	v_fma_f32 v22, -v19, v21, 1.0
	v_fmac_f32_e32 v21, v22, v21
	v_mul_f32_e32 v22, v20, v21
	v_fma_f32 v23, -v19, v22, v20
	v_fmac_f32_e32 v22, v23, v21
	v_fma_f32 v19, -v19, v22, v20
	v_div_fmas_f32 v19, v19, v21, v22
	v_div_fixup_f32 v1, v19, v1, v18
	ds_write_b32 v13, v1
.LBB8_54:                               ;   in Loop: Header=BB8_52 Depth=2
	s_or_b64 exec, exec, s[26:27]
	v_cmp_lt_u32_e32 vcc, s29, v0
	s_waitcnt lgkmcnt(0)
	s_barrier
	s_and_saveexec_b64 s[26:27], vcc
	s_cbranch_execz .LBB8_57
; %bb.55:                               ;   in Loop: Header=BB8_52 Depth=2
	s_add_i32 s30, s14, s29
	s_cmp_lt_i32 s30, s15
	s_cselect_b64 s[30:31], -1, 0
	s_and_b64 s[30:31], s[4:5], s[30:31]
	s_and_b64 exec, exec, s[30:31]
	s_cbranch_execz .LBB8_57
; %bb.56:                               ;   in Loop: Header=BB8_52 Depth=2
	flat_load_dword v1, v[9:10]
	v_mov_b32_e32 v18, s28
	ds_read_b32 v18, v18
	ds_read_b32 v19, v13
	s_waitcnt vmcnt(0) lgkmcnt(0)
	v_fma_f32 v1, -v1, v18, v19
	ds_write_b32 v13, v1
.LBB8_57:                               ;   in Loop: Header=BB8_52 Depth=2
	s_or_b64 exec, exec, s[26:27]
	s_add_i32 s30, s29, 1
	v_cmp_ne_u32_e32 vcc, s30, v0
	s_or_b64 s[26:27], s[12:13], vcc
	s_nor_b64 s[34:35], s[26:27], s[2:3]
	s_and_saveexec_b64 s[26:27], s[34:35]
	s_cbranch_execz .LBB8_59
; %bb.58:                               ;   in Loop: Header=BB8_52 Depth=2
	flat_load_dword v1, v[11:12]
	ds_read_b32 v18, v13
	s_waitcnt vmcnt(0) lgkmcnt(0)
	v_div_scale_f32 v19, s[34:35], v1, v1, v18
	v_div_scale_f32 v20, vcc, v18, v1, v18
	v_rcp_f32_e32 v21, v19
	v_fma_f32 v22, -v19, v21, 1.0
	v_fmac_f32_e32 v21, v22, v21
	v_mul_f32_e32 v22, v20, v21
	v_fma_f32 v23, -v19, v22, v20
	v_fmac_f32_e32 v22, v23, v21
	v_fma_f32 v19, -v19, v22, v20
	v_div_fmas_f32 v19, v19, v21, v22
	v_div_fixup_f32 v1, v19, v1, v18
	ds_write_b32 v13, v1
.LBB8_59:                               ;   in Loop: Header=BB8_52 Depth=2
	s_or_b64 exec, exec, s[26:27]
	v_cmp_lt_u32_e32 vcc, s30, v0
	s_waitcnt lgkmcnt(0)
	s_barrier
	s_and_saveexec_b64 s[26:27], vcc
	s_cbranch_execz .LBB8_51
; %bb.60:                               ;   in Loop: Header=BB8_52 Depth=2
	s_add_i32 s29, s14, s29
	s_add_i32 s29, s29, 1
	s_cmp_lt_i32 s29, s15
	s_cselect_b64 s[34:35], -1, 0
	s_and_b64 s[34:35], s[4:5], s[34:35]
	s_and_b64 exec, exec, s[34:35]
	s_cbranch_execz .LBB8_51
; %bb.61:                               ;   in Loop: Header=BB8_52 Depth=2
	flat_load_dword v1, v[9:10] offset:4
	v_mov_b32_e32 v18, s28
	ds_read_b32 v18, v18 offset:4
	ds_read_b32 v19, v13
	s_waitcnt vmcnt(0) lgkmcnt(0)
	v_fma_f32 v1, -v1, v18, v19
	ds_write_b32 v13, v1
	s_branch .LBB8_51
.LBB8_62:                               ;   in Loop: Header=BB8_48 Depth=1
	s_add_i32 s34, s14, 0x200
	s_cmp_ge_i32 s34, s15
	s_cselect_b64 s[2:3], -1, 0
	s_and_b64 vcc, exec, s[2:3]
	s_waitcnt lgkmcnt(0)
	s_barrier
	s_cbranch_vccnz .LBB8_90
; %bb.63:                               ;   in Loop: Header=BB8_48 Depth=1
	v_mov_b32_e32 v10, v6
	s_mov_b64 s[4:5], 0
	v_mov_b32_e32 v1, v14
	v_mov_b32_e32 v9, v5
	;; [unrolled: 1-line block ×3, first 2 shown]
	s_mov_b32 s35, s34
                                        ; implicit-def: $sgpr26_sgpr27
	s_branch .LBB8_66
.LBB8_64:                               ;   in Loop: Header=BB8_66 Depth=2
	v_mad_u64_u32 v[11:12], s[30:31], s10, v19, 0
	s_addk_i32 s35, 0x200
	s_cmp_ge_i32 s35, s15
	v_mad_u64_u32 v[21:22], s[30:31], s11, v19, v[12:13]
	v_mov_b32_e32 v19, s56
	s_cselect_b64 s[30:31], -1, 0
	v_mov_b32_e32 v12, v21
	v_lshlrev_b64 v[11:12], 2, v[11:12]
	s_andn2_b64 s[26:27], s[26:27], exec
	v_add_co_u32_e32 v11, vcc, s33, v11
	v_addc_co_u32_e32 v12, vcc, v19, v12, vcc
	flat_load_dword v19, v[11:12]
	v_add_co_u32_e32 v9, vcc, 0x200, v9
	s_and_b64 s[30:31], s[30:31], exec
	v_add_u32_e32 v1, 0x200, v1
	v_addc_co_u32_e32 v10, vcc, 0, v10, vcc
	s_or_b64 s[26:27], s[26:27], s[30:31]
	s_waitcnt vmcnt(0) lgkmcnt(0)
	v_sub_f32_e32 v19, v19, v20
	flat_store_dword v[11:12], v19
.LBB8_65:                               ;   in Loop: Header=BB8_66 Depth=2
	s_or_b64 exec, exec, s[28:29]
	s_and_b64 s[28:29], exec, s[26:27]
	s_or_b64 s[4:5], s[28:29], s[4:5]
	s_andn2_b64 exec, exec, s[4:5]
	s_cbranch_execz .LBB8_89
.LBB8_66:                               ;   Parent Loop BB8_48 Depth=1
                                        ; =>  This Loop Header: Depth=2
                                        ;       Child Loop BB8_69 Depth 3
	v_add_u32_e32 v19, s35, v0
	v_cmp_gt_i32_e32 vcc, s15, v19
	s_or_b64 s[26:27], s[26:27], exec
	s_and_saveexec_b64 s[28:29], vcc
	s_cbranch_execz .LBB8_65
; %bb.67:                               ;   in Loop: Header=BB8_66 Depth=2
	v_mad_u64_u32 v[11:12], s[30:31], v9, v1, 0
	v_add_u32_e32 v22, 0x1fe, v18
	v_add_u32_e32 v23, 0x1ff, v18
	v_mad_u64_u32 v[20:21], s[30:31], v10, v1, v[12:13]
	v_add_u32_e32 v21, 0x1fd, v18
	v_add_u32_e32 v18, 0x200, v18
	v_mov_b32_e32 v12, v20
	v_lshlrev_b64 v[11:12], 1, v[11:12]
	v_mov_b32_e32 v20, 0
	v_and_b32_e32 v11, -4, v11
	v_add_co_u32_e32 v11, vcc, s24, v11
	v_addc_co_u32_e32 v12, vcc, v17, v12, vcc
	s_mov_b32 s36, 0
	s_movk_i32 s37, 0x800
	s_branch .LBB8_69
.LBB8_68:                               ;   in Loop: Header=BB8_69 Depth=3
	s_or_b64 exec, exec, s[30:31]
	s_add_i32 s36, s36, 4
	s_add_i32 s37, s37, 16
	v_add_co_u32_e32 v11, vcc, 16, v11
	s_cmpk_eq_i32 s36, 0x200
	v_addc_co_u32_e32 v12, vcc, 0, v12, vcc
	s_cbranch_scc1 .LBB8_64
.LBB8_69:                               ;   Parent Loop BB8_48 Depth=1
                                        ;     Parent Loop BB8_66 Depth=2
                                        ; =>    This Inner Loop Header: Depth=3
	v_cmp_ne_u32_e32 vcc, s36, v18
	s_add_i32 s38, s14, s36
	s_or_b64 s[30:31], s[22:23], vcc
	s_and_saveexec_b64 s[40:41], s[30:31]
	s_xor_b64 s[30:31], exec, s[40:41]
	s_cbranch_execz .LBB8_72
; %bb.70:                               ;   in Loop: Header=BB8_69 Depth=3
	s_cmp_ge_i32 s38, s15
	s_cbranch_scc1 .LBB8_72
; %bb.71:                               ;   in Loop: Header=BB8_69 Depth=3
	flat_load_dword v24, v[11:12]
	v_mov_b32_e32 v25, s37
	ds_read_b32 v25, v25
	s_waitcnt vmcnt(0) lgkmcnt(0)
	v_fmac_f32_e32 v20, v24, v25
.LBB8_72:                               ;   in Loop: Header=BB8_69 Depth=3
	s_andn2_saveexec_b64 s[30:31], s[30:31]
	s_cbranch_execz .LBB8_74
; %bb.73:                               ;   in Loop: Header=BB8_69 Depth=3
	v_mov_b32_e32 v24, s37
	ds_read_b32 v24, v24
	s_waitcnt lgkmcnt(0)
	v_add_f32_e32 v20, v20, v24
.LBB8_74:                               ;   in Loop: Header=BB8_69 Depth=3
	s_or_b64 exec, exec, s[30:31]
	v_cmp_ne_u32_e32 vcc, s36, v23
	s_or_b64 s[30:31], s[22:23], vcc
	s_and_saveexec_b64 s[40:41], s[30:31]
	s_xor_b64 s[30:31], exec, s[40:41]
	s_cbranch_execz .LBB8_77
; %bb.75:                               ;   in Loop: Header=BB8_69 Depth=3
	s_add_i32 s39, s38, 1
	s_cmp_ge_i32 s39, s15
	s_cbranch_scc1 .LBB8_77
; %bb.76:                               ;   in Loop: Header=BB8_69 Depth=3
	flat_load_dword v24, v[11:12] offset:4
	v_mov_b32_e32 v25, s37
	ds_read_b32 v25, v25 offset:4
	s_waitcnt vmcnt(0) lgkmcnt(0)
	v_fmac_f32_e32 v20, v24, v25
.LBB8_77:                               ;   in Loop: Header=BB8_69 Depth=3
	s_andn2_saveexec_b64 s[30:31], s[30:31]
	s_cbranch_execz .LBB8_79
; %bb.78:                               ;   in Loop: Header=BB8_69 Depth=3
	v_mov_b32_e32 v24, s37
	ds_read_b32 v24, v24 offset:4
	s_waitcnt lgkmcnt(0)
	v_add_f32_e32 v20, v20, v24
.LBB8_79:                               ;   in Loop: Header=BB8_69 Depth=3
	s_or_b64 exec, exec, s[30:31]
	v_cmp_ne_u32_e32 vcc, s36, v22
	s_or_b64 s[30:31], s[22:23], vcc
	s_and_saveexec_b64 s[40:41], s[30:31]
	s_xor_b64 s[30:31], exec, s[40:41]
	s_cbranch_execz .LBB8_82
; %bb.80:                               ;   in Loop: Header=BB8_69 Depth=3
	s_add_i32 s39, s38, 2
	s_cmp_ge_i32 s39, s15
	s_cbranch_scc1 .LBB8_82
; %bb.81:                               ;   in Loop: Header=BB8_69 Depth=3
	flat_load_dword v24, v[11:12] offset:8
	v_mov_b32_e32 v25, s37
	ds_read_b32 v25, v25 offset:8
	s_waitcnt vmcnt(0) lgkmcnt(0)
	v_fmac_f32_e32 v20, v24, v25
.LBB8_82:                               ;   in Loop: Header=BB8_69 Depth=3
	s_andn2_saveexec_b64 s[30:31], s[30:31]
	s_cbranch_execz .LBB8_84
; %bb.83:                               ;   in Loop: Header=BB8_69 Depth=3
	v_mov_b32_e32 v24, s37
	ds_read_b32 v24, v24 offset:8
	s_waitcnt lgkmcnt(0)
	v_add_f32_e32 v20, v20, v24
.LBB8_84:                               ;   in Loop: Header=BB8_69 Depth=3
	s_or_b64 exec, exec, s[30:31]
	v_cmp_ne_u32_e32 vcc, s36, v21
	s_or_b64 s[30:31], s[22:23], vcc
	s_and_saveexec_b64 s[40:41], s[30:31]
	s_xor_b64 s[30:31], exec, s[40:41]
	s_cbranch_execz .LBB8_87
; %bb.85:                               ;   in Loop: Header=BB8_69 Depth=3
	s_add_i32 s38, s38, 3
	s_cmp_ge_i32 s38, s15
	s_cbranch_scc1 .LBB8_87
; %bb.86:                               ;   in Loop: Header=BB8_69 Depth=3
	flat_load_dword v24, v[11:12] offset:12
	v_mov_b32_e32 v25, s37
	ds_read_b32 v25, v25 offset:12
	s_waitcnt vmcnt(0) lgkmcnt(0)
	v_fmac_f32_e32 v20, v24, v25
.LBB8_87:                               ;   in Loop: Header=BB8_69 Depth=3
	s_andn2_saveexec_b64 s[30:31], s[30:31]
	s_cbranch_execz .LBB8_68
; %bb.88:                               ;   in Loop: Header=BB8_69 Depth=3
	v_mov_b32_e32 v24, s37
	ds_read_b32 v24, v24 offset:12
	s_waitcnt lgkmcnt(0)
	v_add_f32_e32 v20, v20, v24
	s_branch .LBB8_68
.LBB8_89:                               ;   in Loop: Header=BB8_48 Depth=1
	s_or_b64 exec, exec, s[4:5]
.LBB8_90:                               ;   in Loop: Header=BB8_48 Depth=1
	s_and_saveexec_b64 s[4:5], s[0:1]
	s_cbranch_execz .LBB8_47
; %bb.91:                               ;   in Loop: Header=BB8_48 Depth=1
	v_mad_u64_u32 v[9:10], s[0:1], s10, v16, 0
	v_mov_b32_e32 v1, v10
	v_mad_u64_u32 v[10:11], s[0:1], s11, v16, v[1:2]
	ds_read_b32 v1, v13
	v_mov_b32_e32 v11, s56
	v_lshlrev_b64 v[9:10], 2, v[9:10]
	v_add_co_u32_e32 v9, vcc, s33, v9
	v_addc_co_u32_e32 v10, vcc, v11, v10, vcc
	s_waitcnt lgkmcnt(0)
	flat_store_dword v[9:10], v1
	s_branch .LBB8_47
.LBB8_92:
	s_mov_b64 s[0:1], 0
.LBB8_93:
	s_andn2_b64 vcc, exec, s[0:1]
	s_cbranch_vccnz .LBB8_180
; %bb.94:
	s_mov_b64 s[0:1], -1
	s_and_b64 vcc, exec, s[20:21]
	s_cbranch_vccz .LBB8_134
; %bb.95:
	s_andn2_b64 vcc, exec, s[8:9]
	s_cbranch_vccnz .LBB8_133
; %bb.96:
	s_lshl_b32 s20, s15, 1
	s_or_b32 s14, s20, 1
	s_ashr_i32 s21, s20, 31
	s_add_u32 s57, s16, s18
	s_addc_u32 s0, s17, s19
	v_mov_b32_e32 v17, s0
	s_lshl_b64 s[0:1], s[20:21], 9
	s_add_u32 s30, s0, 0xfffbfe00
	s_addc_u32 s31, s1, -1
	s_lshl_b64 s[2:3], s[20:21], 1
	s_add_u32 s16, s2, -6
	v_lshlrev_b32_e32 v16, 2, v0
	s_addc_u32 s17, s3, -1
	v_add_co_u32_e32 v2, vcc, s57, v16
	s_add_u32 s28, s0, 0xfffc0200
	v_addc_co_u32_e32 v3, vcc, 0, v17, vcc
	s_addc_u32 s29, s1, -1
	v_add_co_u32_e32 v4, vcc, -4, v2
	s_add_u32 s18, s2, -2
	v_mov_b32_e32 v1, 0
	v_addc_co_u32_e32 v5, vcc, -1, v3, vcc
	s_addc_u32 s19, s3, -1
	v_or_b32_e32 v18, 0x200, v0
	s_mov_b64 s[22:23], -1
	s_mov_b64 s[24:25], 0
	v_mov_b32_e32 v19, s7
	s_mov_b64 s[26:27], 0
	s_mov_b64 s[34:35], 0
	s_branch .LBB8_98
.LBB8_97:                               ;   in Loop: Header=BB8_98 Depth=1
	s_or_b64 exec, exec, s[34:35]
	s_add_u32 s0, s30, 0xfff80000
	s_addc_u32 s1, s31, -1
	s_add_u32 s20, s20, s30
	s_addc_u32 s21, s21, s31
	s_add_u32 s16, s16, 0xfffff800
	s_addc_u32 s17, s17, -1
	s_add_u32 s30, s28, 0xfff80000
	s_addc_u32 s31, s29, -1
	s_add_u32 s24, s24, s28
	s_addc_u32 s25, s25, s29
	s_add_u32 s18, s18, 0xfffff800
	s_addc_u32 s19, s19, -1
	s_add_u32 s22, s22, 0xfffffe00
	s_addc_u32 s23, s23, -1
	s_add_u32 s26, s26, 0xfffffe00
	v_add_u32_e32 v18, 0x200, v18
	s_addc_u32 s27, s27, -1
	s_and_b64 vcc, exec, s[4:5]
	s_mov_b64 s[28:29], s[30:31]
	s_mov_b64 s[30:31], s[0:1]
	;; [unrolled: 1-line block ×3, first 2 shown]
	s_waitcnt vmcnt(0) lgkmcnt(0)
	s_barrier
	s_cbranch_vccnz .LBB8_133
.LBB8_98:                               ; =>This Loop Header: Depth=1
                                        ;     Child Loop BB8_102 Depth 2
                                        ;     Child Loop BB8_116 Depth 2
                                        ;       Child Loop BB8_118 Depth 3
	v_add_u32_e32 v20, s34, v0
	v_cmp_le_i32_e32 vcc, s15, v20
	v_cmp_gt_i32_e64 s[0:1], s15, v20
	s_and_saveexec_b64 s[4:5], s[0:1]
	s_cbranch_execz .LBB8_100
; %bb.99:                               ;   in Loop: Header=BB8_98 Depth=1
	v_mad_u64_u32 v[6:7], s[2:3], s10, v20, 0
	v_mad_u64_u32 v[7:8], s[2:3], s11, v20, v[7:8]
	v_mov_b32_e32 v8, s56
	v_lshlrev_b64 v[6:7], 2, v[6:7]
	v_add_co_u32_e64 v6, s[2:3], s33, v6
	v_addc_co_u32_e64 v7, s[2:3], v8, v7, s[2:3]
	flat_load_dword v6, v[6:7]
	s_waitcnt vmcnt(0) lgkmcnt(0)
	ds_write_b32 v16, v6
.LBB8_100:                              ;   in Loop: Header=BB8_98 Depth=1
	s_or_b64 exec, exec, s[4:5]
	v_or_b32_e32 v9, s34, v0
	v_sub_u32_e32 v8, s14, v9
	v_mad_u64_u32 v[6:7], s[2:3], v8, v9, 0
	v_ashrrev_i32_e32 v8, 31, v8
	v_mov_b32_e32 v11, v5
	v_mad_u64_u32 v[7:8], s[2:3], v8, v9, v[7:8]
	v_cmp_le_i32_e64 s[2:3], s15, v9
	v_mov_b32_e32 v9, v3
	v_lshlrev_b64 v[6:7], 1, v[6:7]
	s_mov_b32 s48, 0
	v_and_b32_e32 v6, -4, v6
	v_add_co_u32_e64 v6, s[4:5], s6, v6
	v_addc_co_u32_e64 v7, s[4:5], v19, v7, s[4:5]
	s_mov_b64 s[44:45], 0
	s_xor_b64 s[4:5], vcc, -1
	s_mov_b64 s[36:37], s[24:25]
	s_mov_b64 s[40:41], s[18:19]
	v_mov_b32_e32 v8, v2
	s_mov_b64 s[38:39], s[20:21]
	s_mov_b64 s[42:43], s[16:17]
	v_mov_b32_e32 v10, v4
	s_waitcnt lgkmcnt(0)
	s_barrier
	s_branch .LBB8_102
.LBB8_101:                              ;   in Loop: Header=BB8_102 Depth=2
	s_or_b64 exec, exec, s[46:47]
	s_add_i32 s48, s48, 8
	s_add_u32 s46, s42, -8
	s_addc_u32 s47, s43, -1
	s_add_u32 s38, s38, s42
	s_addc_u32 s39, s39, s43
	s_add_u32 s42, s40, -8
	s_addc_u32 s43, s41, -1
	s_add_u32 s36, s36, s40
	v_add_co_u32_e32 v10, vcc, -8, v10
	s_addc_u32 s37, s37, s41
	v_addc_co_u32_e32 v11, vcc, -1, v11, vcc
	s_add_u32 s44, s49, 1
	v_add_co_u32_e32 v8, vcc, -8, v8
	s_addc_u32 s45, s45, 0
	v_addc_co_u32_e32 v9, vcc, -1, v9, vcc
	s_cmpk_eq_i32 s44, 0x200
	s_mov_b64 s[40:41], s[42:43]
	s_mov_b64 s[42:43], s[46:47]
	s_cbranch_scc1 .LBB8_112
.LBB8_102:                              ;   Parent Loop BB8_98 Depth=1
                                        ; =>  This Inner Loop Header: Depth=2
	v_cmp_ne_u32_e32 vcc, s44, v0
	s_or_b64 s[46:47], s[12:13], vcc
	s_nor_b64 s[50:51], s[46:47], s[2:3]
	s_and_saveexec_b64 s[46:47], s[50:51]
	s_cbranch_execz .LBB8_104
; %bb.103:                              ;   in Loop: Header=BB8_102 Depth=2
	flat_load_dword v12, v[6:7]
	ds_read_b32 v13, v16
	s_waitcnt vmcnt(0) lgkmcnt(0)
	v_div_scale_f32 v14, s[50:51], v12, v12, v13
	v_div_scale_f32 v15, vcc, v13, v12, v13
	v_rcp_f32_e32 v21, v14
	v_fma_f32 v22, -v14, v21, 1.0
	v_fmac_f32_e32 v21, v22, v21
	v_mul_f32_e32 v22, v15, v21
	v_fma_f32 v23, -v14, v22, v15
	v_fmac_f32_e32 v22, v23, v21
	v_fma_f32 v14, -v14, v22, v15
	v_div_fmas_f32 v14, v14, v21, v22
	v_div_fixup_f32 v12, v14, v12, v13
	ds_write_b32 v16, v12
.LBB8_104:                              ;   in Loop: Header=BB8_102 Depth=2
	s_or_b64 exec, exec, s[46:47]
	v_cmp_lt_u32_e32 vcc, s44, v0
	s_waitcnt lgkmcnt(0)
	s_barrier
	s_and_saveexec_b64 s[46:47], vcc
	s_cbranch_execz .LBB8_107
; %bb.105:                              ;   in Loop: Header=BB8_102 Depth=2
	s_add_i32 s49, s34, s44
	s_cmp_lt_i32 s49, s15
	s_cselect_b64 s[50:51], -1, 0
	s_and_b64 s[50:51], s[4:5], s[50:51]
	s_and_b64 exec, exec, s[50:51]
	s_cbranch_execz .LBB8_107
; %bb.106:                              ;   in Loop: Header=BB8_102 Depth=2
	s_lshl_b64 s[50:51], s[36:37], 1
	s_and_b32 s49, s50, -4
	v_mov_b32_e32 v13, s51
	v_add_co_u32_e32 v12, vcc, s49, v8
	v_addc_co_u32_e32 v13, vcc, v9, v13, vcc
	flat_load_dword v12, v[12:13]
	v_mov_b32_e32 v13, s48
	ds_read_b32 v13, v13
	ds_read_b32 v14, v16
	s_waitcnt vmcnt(0) lgkmcnt(0)
	v_fma_f32 v12, -v12, v13, v14
	ds_write_b32 v16, v12
.LBB8_107:                              ;   in Loop: Header=BB8_102 Depth=2
	s_or_b64 exec, exec, s[46:47]
	s_add_u32 s49, s44, 1
	v_cmp_ne_u32_e32 vcc, s49, v0
	s_addc_u32 s45, s45, 0
	s_or_b64 s[46:47], s[12:13], vcc
	s_nor_b64 s[50:51], s[46:47], s[2:3]
	s_and_saveexec_b64 s[46:47], s[50:51]
	s_cbranch_execz .LBB8_109
; %bb.108:                              ;   in Loop: Header=BB8_102 Depth=2
	flat_load_dword v12, v[6:7]
	ds_read_b32 v13, v16
	s_waitcnt vmcnt(0) lgkmcnt(0)
	v_div_scale_f32 v14, s[50:51], v12, v12, v13
	v_div_scale_f32 v15, vcc, v13, v12, v13
	v_rcp_f32_e32 v21, v14
	v_fma_f32 v22, -v14, v21, 1.0
	v_fmac_f32_e32 v21, v22, v21
	v_mul_f32_e32 v22, v15, v21
	v_fma_f32 v23, -v14, v22, v15
	v_fmac_f32_e32 v22, v23, v21
	v_fma_f32 v14, -v14, v22, v15
	v_div_fmas_f32 v14, v14, v21, v22
	v_div_fixup_f32 v12, v14, v12, v13
	ds_write_b32 v16, v12
.LBB8_109:                              ;   in Loop: Header=BB8_102 Depth=2
	s_or_b64 exec, exec, s[46:47]
	v_cmp_lt_u32_e32 vcc, s49, v0
	s_waitcnt lgkmcnt(0)
	s_barrier
	s_and_saveexec_b64 s[46:47], vcc
	s_cbranch_execz .LBB8_101
; %bb.110:                              ;   in Loop: Header=BB8_102 Depth=2
	s_add_i32 s44, s34, s44
	s_add_i32 s44, s44, 1
	s_cmp_lt_i32 s44, s15
	s_cselect_b64 s[50:51], -1, 0
	s_and_b64 s[50:51], s[4:5], s[50:51]
	s_and_b64 exec, exec, s[50:51]
	s_cbranch_execz .LBB8_101
; %bb.111:                              ;   in Loop: Header=BB8_102 Depth=2
	s_lshl_b64 s[50:51], s[38:39], 1
	s_and_b32 s44, s50, -4
	v_mov_b32_e32 v13, s51
	v_add_co_u32_e32 v12, vcc, s44, v10
	v_addc_co_u32_e32 v13, vcc, v11, v13, vcc
	flat_load_dword v12, v[12:13]
	v_mov_b32_e32 v13, s48
	ds_read_b32 v13, v13 offset:4
	ds_read_b32 v14, v16
	s_waitcnt vmcnt(0) lgkmcnt(0)
	v_fma_f32 v12, -v12, v13, v14
	ds_write_b32 v16, v12
	s_branch .LBB8_101
.LBB8_112:                              ;   in Loop: Header=BB8_98 Depth=1
	s_add_u32 s2, s34, 0x200
	s_addc_u32 s3, s35, 0
	s_cmp_ge_i32 s2, s15
	s_cselect_b64 s[4:5], -1, 0
	s_and_b64 vcc, exec, s[4:5]
	s_waitcnt lgkmcnt(0)
	s_barrier
	s_cbranch_vccnz .LBB8_131
; %bb.113:                              ;   in Loop: Header=BB8_98 Depth=1
	v_ashrrev_i32_e32 v9, 31, v18
	v_mov_b32_e32 v7, s23
	v_add_co_u32_e32 v6, vcc, s22, v18
	v_addc_co_u32_e32 v7, vcc, v7, v9, vcc
	v_lshlrev_b64 v[6:7], 2, v[6:7]
	v_mov_b32_e32 v10, s27
	v_add_co_u32_e32 v6, vcc, s57, v6
	v_addc_co_u32_e32 v7, vcc, v17, v7, vcc
	v_add_co_u32_e32 v8, vcc, s26, v18
	v_addc_co_u32_e32 v9, vcc, v10, v9, vcc
	v_lshlrev_b64 v[8:9], 2, v[8:9]
	v_mov_b32_e32 v11, v1
	v_add_co_u32_e32 v8, vcc, s57, v8
	s_mov_b32 s35, s2
	v_addc_co_u32_e32 v9, vcc, v17, v9, vcc
	s_mov_b64 s[36:37], 0
	v_mov_b32_e32 v10, v0
                                        ; implicit-def: $sgpr38_sgpr39
	s_branch .LBB8_116
.LBB8_114:                              ;   in Loop: Header=BB8_116 Depth=2
	v_mad_u64_u32 v[12:13], s[42:43], s10, v22, 0
	s_addk_i32 s35, 0x200
	s_cmp_ge_i32 s35, s15
	v_mad_u64_u32 v[13:14], s[42:43], s11, v22, v[13:14]
	v_mov_b32_e32 v14, s56
	s_cselect_b64 s[42:43], -1, 0
	v_lshlrev_b64 v[12:13], 2, v[12:13]
	s_andn2_b64 s[38:39], s[38:39], exec
	v_add_co_u32_e32 v12, vcc, s33, v12
	v_addc_co_u32_e32 v13, vcc, v14, v13, vcc
	flat_load_dword v14, v[12:13]
	v_add_co_u32_e32 v6, vcc, 0x800, v6
	v_addc_co_u32_e32 v7, vcc, 0, v7, vcc
	v_add_co_u32_e32 v8, vcc, 0x800, v8
	s_and_b64 s[42:43], s[42:43], exec
	v_addc_co_u32_e32 v9, vcc, 0, v9, vcc
	s_or_b64 s[38:39], s[38:39], s[42:43]
	s_waitcnt vmcnt(0) lgkmcnt(0)
	v_sub_f32_e32 v14, v14, v21
	flat_store_dword v[12:13], v14
.LBB8_115:                              ;   in Loop: Header=BB8_116 Depth=2
	s_or_b64 exec, exec, s[40:41]
	s_and_b64 s[40:41], exec, s[38:39]
	s_or_b64 s[36:37], s[40:41], s[36:37]
	s_andn2_b64 exec, exec, s[36:37]
	s_cbranch_execz .LBB8_130
.LBB8_116:                              ;   Parent Loop BB8_98 Depth=1
                                        ; =>  This Loop Header: Depth=2
                                        ;       Child Loop BB8_118 Depth 3
	v_add_u32_e32 v22, s35, v0
	v_cmp_gt_i32_e32 vcc, s15, v22
	s_or_b64 s[38:39], s[38:39], exec
	s_and_saveexec_b64 s[40:41], vcc
	s_cbranch_execz .LBB8_115
; %bb.117:                              ;   in Loop: Header=BB8_116 Depth=2
	v_add_co_u32_e32 v23, vcc, 0x1ff, v10
	v_add_co_u32_e32 v10, vcc, 0x200, v10
	v_mov_b32_e32 v13, v9
	v_mov_b32_e32 v15, v7
	v_addc_co_u32_e32 v11, vcc, 0, v11, vcc
	v_mov_b32_e32 v21, 0
	s_mov_b64 s[42:43], 0
	s_mov_b32 s58, 0
	s_mov_b64 s[44:45], s[24:25]
	s_mov_b64 s[48:49], s[18:19]
	v_mov_b32_e32 v12, v8
	s_mov_b64 s[46:47], s[20:21]
	s_mov_b64 s[50:51], s[16:17]
	v_mov_b32_e32 v14, v6
.LBB8_118:                              ;   Parent Loop BB8_98 Depth=1
                                        ;     Parent Loop BB8_116 Depth=2
                                        ; =>    This Inner Loop Header: Depth=3
	v_cmp_ne_u32_e32 vcc, s42, v10
	s_xor_b64 s[52:53], s[12:13], -1
	s_add_u32 s59, s34, s42
	s_or_b64 s[54:55], s[52:53], vcc
	s_and_saveexec_b64 s[60:61], s[54:55]
	s_xor_b64 s[54:55], exec, s[60:61]
	s_cbranch_execz .LBB8_121
; %bb.119:                              ;   in Loop: Header=BB8_118 Depth=3
	s_cmp_ge_i32 s59, s15
	s_cbranch_scc1 .LBB8_121
; %bb.120:                              ;   in Loop: Header=BB8_118 Depth=3
	s_lshl_b64 s[60:61], s[44:45], 1
	s_and_b32 s60, s60, -4
	v_mov_b32_e32 v25, s61
	v_add_co_u32_e32 v24, vcc, s60, v12
	v_addc_co_u32_e32 v25, vcc, v13, v25, vcc
	flat_load_dword v24, v[24:25]
	v_mov_b32_e32 v25, s58
	ds_read_b32 v25, v25
	s_waitcnt vmcnt(0) lgkmcnt(0)
	v_fmac_f32_e32 v21, v24, v25
.LBB8_121:                              ;   in Loop: Header=BB8_118 Depth=3
	s_andn2_saveexec_b64 s[54:55], s[54:55]
	s_cbranch_execz .LBB8_123
; %bb.122:                              ;   in Loop: Header=BB8_118 Depth=3
	v_mov_b32_e32 v24, s58
	ds_read_b32 v24, v24
	s_waitcnt lgkmcnt(0)
	v_add_f32_e32 v21, v21, v24
.LBB8_123:                              ;   in Loop: Header=BB8_118 Depth=3
	s_or_b64 exec, exec, s[54:55]
	v_cmp_ne_u32_e32 vcc, s42, v23
	s_or_b64 s[52:53], s[52:53], vcc
	s_and_saveexec_b64 s[54:55], s[52:53]
	s_xor_b64 s[52:53], exec, s[54:55]
	s_cbranch_execz .LBB8_126
; %bb.124:                              ;   in Loop: Header=BB8_118 Depth=3
	s_add_i32 s59, s59, 1
	s_cmp_ge_i32 s59, s15
	s_cbranch_scc1 .LBB8_126
; %bb.125:                              ;   in Loop: Header=BB8_118 Depth=3
	s_lshl_b64 s[54:55], s[46:47], 1
	s_and_b32 s54, s54, -4
	v_mov_b32_e32 v25, s55
	v_add_co_u32_e32 v24, vcc, s54, v14
	v_addc_co_u32_e32 v25, vcc, v15, v25, vcc
	flat_load_dword v24, v[24:25]
	v_mov_b32_e32 v25, s58
	ds_read_b32 v25, v25 offset:4
	s_waitcnt vmcnt(0) lgkmcnt(0)
	v_fmac_f32_e32 v21, v24, v25
.LBB8_126:                              ;   in Loop: Header=BB8_118 Depth=3
	s_andn2_saveexec_b64 s[52:53], s[52:53]
	s_cbranch_execz .LBB8_128
; %bb.127:                              ;   in Loop: Header=BB8_118 Depth=3
	v_mov_b32_e32 v24, s58
	ds_read_b32 v24, v24 offset:4
	s_waitcnt lgkmcnt(0)
	v_add_f32_e32 v21, v21, v24
.LBB8_128:                              ;   in Loop: Header=BB8_118 Depth=3
	s_or_b64 exec, exec, s[52:53]
	s_add_u32 s42, s42, 2
	s_addc_u32 s43, s43, 0
	s_add_u32 s52, s50, -8
	s_addc_u32 s53, s51, -1
	s_add_u32 s46, s46, s50
	s_addc_u32 s47, s47, s51
	s_add_i32 s58, s58, 8
	s_add_u32 s50, s48, -8
	v_add_co_u32_e32 v14, vcc, -8, v14
	s_addc_u32 s51, s49, -1
	v_addc_co_u32_e32 v15, vcc, -1, v15, vcc
	s_add_u32 s44, s44, s48
	s_addc_u32 s45, s45, s49
	v_add_co_u32_e32 v12, vcc, -8, v12
	s_cmpk_eq_i32 s42, 0x200
	v_addc_co_u32_e32 v13, vcc, -1, v13, vcc
	s_cbranch_scc1 .LBB8_114
; %bb.129:                              ;   in Loop: Header=BB8_118 Depth=3
	s_mov_b64 s[48:49], s[50:51]
	s_mov_b64 s[50:51], s[52:53]
	s_branch .LBB8_118
.LBB8_130:                              ;   in Loop: Header=BB8_98 Depth=1
	s_or_b64 exec, exec, s[36:37]
.LBB8_131:                              ;   in Loop: Header=BB8_98 Depth=1
	s_and_saveexec_b64 s[34:35], s[0:1]
	s_cbranch_execz .LBB8_97
; %bb.132:                              ;   in Loop: Header=BB8_98 Depth=1
	v_mad_u64_u32 v[6:7], s[0:1], s10, v20, 0
	v_mov_b32_e32 v9, s56
	v_mad_u64_u32 v[7:8], s[0:1], s11, v20, v[7:8]
	ds_read_b32 v8, v16
	v_lshlrev_b64 v[6:7], 2, v[6:7]
	v_add_co_u32_e32 v6, vcc, s33, v6
	v_addc_co_u32_e32 v7, vcc, v9, v7, vcc
	s_waitcnt lgkmcnt(0)
	flat_store_dword v[6:7], v8
	s_branch .LBB8_97
.LBB8_133:
	s_mov_b64 s[0:1], 0
.LBB8_134:
	s_andn2_b64 vcc, exec, s[0:1]
	s_cbranch_vccnz .LBB8_180
; %bb.135:
	s_andn2_b64 vcc, exec, s[8:9]
	s_cbranch_vccnz .LBB8_180
; %bb.136:
	v_mov_b32_e32 v1, 0x1000
	v_mov_b32_e32 v3, 0
	s_add_i32 s28, s15, 0xfffffe00
	v_lshl_or_b32 v12, v0, 2, v1
	v_add_u32_e32 v13, 0xfffffe01, v0
	s_mov_b32 s26, 0
	s_mov_b32 s27, s15
	v_mov_b32_e32 v1, v3
	v_mov_b32_e32 v14, s7
	s_xor_b64 s[4:5], s[12:13], -1
	s_branch .LBB8_138
.LBB8_137:                              ;   in Loop: Header=BB8_138 Depth=1
	s_or_b64 exec, exec, s[8:9]
	s_add_u32 s27, s27, 0xfffffe00
	s_addc_u32 s26, s26, -1
	s_and_b64 vcc, exec, s[2:3]
	s_mov_b32 s28, s7
	s_waitcnt vmcnt(0) lgkmcnt(0)
	s_barrier
	s_cbranch_vccnz .LBB8_180
.LBB8_138:                              ; =>This Loop Header: Depth=1
                                        ;     Child Loop BB8_143 Depth 2
                                        ;     Child Loop BB8_158 Depth 2
                                        ;       Child Loop BB8_161 Depth 3
	v_add_u32_e32 v4, s28, v0
	v_cmp_gt_i32_e32 vcc, 0, v4
	v_cmp_lt_i32_e64 s[0:1], -1, v4
	v_mov_b32_e32 v5, v3
	s_and_saveexec_b64 s[8:9], s[0:1]
	s_cbranch_execz .LBB8_140
; %bb.139:                              ;   in Loop: Header=BB8_138 Depth=1
	v_mad_u64_u32 v[6:7], s[2:3], s10, v4, 0
	v_mov_b32_e32 v2, v7
	v_mad_u64_u32 v[7:8], s[2:3], s11, v4, v[2:3]
	v_mov_b32_e32 v2, s56
	v_lshlrev_b64 v[6:7], 2, v[6:7]
	v_add_co_u32_e64 v6, s[2:3], s33, v6
	v_addc_co_u32_e64 v7, s[2:3], v2, v7, s[2:3]
	flat_load_dword v2, v[6:7]
	s_waitcnt vmcnt(0) lgkmcnt(0)
	ds_write_b32 v12, v2
.LBB8_140:                              ;   in Loop: Header=BB8_138 Depth=1
	s_or_b64 exec, exec, s[8:9]
	v_add_u32_e32 v2, 1, v4
	v_mad_u64_u32 v[8:9], s[2:3], v4, v2, 0
	v_lshlrev_b64 v[10:11], 2, v[4:5]
	v_ashrrev_i32_e32 v7, 31, v4
	v_mov_b32_e32 v6, v4
	v_add_co_u32_e64 v10, s[2:3], s6, v10
	v_lshlrev_b64 v[5:6], 2, v[6:7]
	v_addc_co_u32_e64 v11, s[2:3], v14, v11, s[2:3]
	v_lshlrev_b64 v[8:9], 1, v[8:9]
	v_add_co_u32_e64 v2, s[2:3], s6, v5
	v_addc_co_u32_e64 v7, s[2:3], v14, v6, s[2:3]
	v_and_b32_e32 v5, -4, v8
	v_add_co_u32_e64 v5, s[2:3], v10, v5
	v_addc_co_u32_e64 v6, s[2:3], v11, v9, s[2:3]
	s_or_b64 s[2:3], s[12:13], vcc
	s_movk_i32 s7, 0x1ff
	s_movk_i32 s16, 0x17f8
	v_mov_b32_e32 v9, s27
	s_xor_b64 s[8:9], s[2:3], -1
	v_mov_b32_e32 v8, v13
	s_waitcnt lgkmcnt(0)
	s_barrier
	s_branch .LBB8_143
.LBB8_141:                              ;   in Loop: Header=BB8_143 Depth=2
	s_or_b64 exec, exec, s[14:15]
	v_mov_b32_e32 v9, v11
.LBB8_142:                              ;   in Loop: Header=BB8_143 Depth=2
	s_or_b64 exec, exec, s[2:3]
	s_add_i32 s7, s7, -2
	s_add_i32 s16, s16, -8
	s_cmp_eq_u32 s17, 0
	v_add_u32_e32 v8, 2, v8
	s_cbranch_scc1 .LBB8_154
.LBB8_143:                              ;   Parent Loop BB8_138 Depth=1
                                        ; =>  This Inner Loop Header: Depth=2
	v_cmp_eq_u32_e32 vcc, 0, v8
	s_and_b64 s[14:15], vcc, s[8:9]
	s_and_saveexec_b64 s[2:3], s[14:15]
	s_cbranch_execz .LBB8_145
; %bb.144:                              ;   in Loop: Header=BB8_143 Depth=2
	flat_load_dword v10, v[5:6]
	ds_read_b32 v11, v12
	s_waitcnt vmcnt(0) lgkmcnt(0)
	v_div_scale_f32 v15, s[14:15], v10, v10, v11
	v_div_scale_f32 v16, vcc, v11, v10, v11
	v_rcp_f32_e32 v17, v15
	v_fma_f32 v18, -v15, v17, 1.0
	v_fmac_f32_e32 v17, v18, v17
	v_mul_f32_e32 v18, v16, v17
	v_fma_f32 v19, -v15, v18, v16
	v_fmac_f32_e32 v18, v19, v17
	v_fma_f32 v15, -v15, v18, v16
	v_div_fmas_f32 v15, v15, v17, v18
	v_div_fixup_f32 v10, v15, v10, v11
	ds_write_b32 v12, v10
.LBB8_145:                              ;   in Loop: Header=BB8_143 Depth=2
	s_or_b64 exec, exec, s[2:3]
	v_add_u32_e32 v10, -1, v9
	v_or_b32_e32 v11, v4, v10
	v_cmp_gt_u32_e32 vcc, s7, v0
	v_cmp_lt_i32_e64 s[2:3], -1, v11
	s_and_b64 s[14:15], vcc, s[2:3]
	s_waitcnt lgkmcnt(0)
	s_barrier
	s_and_saveexec_b64 s[2:3], s[14:15]
	s_cbranch_execz .LBB8_147
; %bb.146:                              ;   in Loop: Header=BB8_143 Depth=2
	v_mad_u64_u32 v[15:16], s[14:15], v9, v10, 0
	v_lshlrev_b64 v[15:16], 1, v[15:16]
	v_and_b32_e32 v11, -4, v15
	v_add_co_u32_e32 v15, vcc, v2, v11
	v_addc_co_u32_e32 v16, vcc, v7, v16, vcc
	flat_load_dword v11, v[15:16]
	v_mov_b32_e32 v15, s16
	ds_read_b32 v15, v15 offset:4
	ds_read_b32 v16, v12
	s_waitcnt vmcnt(0) lgkmcnt(0)
	v_fma_f32 v11, -v11, v15, v16
	ds_write_b32 v12, v11
.LBB8_147:                              ;   in Loop: Header=BB8_143 Depth=2
	s_or_b64 exec, exec, s[2:3]
	s_add_i32 s17, s7, -1
	v_cmp_eq_u32_e32 vcc, s17, v0
	s_and_b64 s[14:15], vcc, s[8:9]
	s_and_saveexec_b64 s[2:3], s[14:15]
	s_cbranch_execz .LBB8_149
; %bb.148:                              ;   in Loop: Header=BB8_143 Depth=2
	flat_load_dword v11, v[5:6]
	ds_read_b32 v15, v12
	s_waitcnt vmcnt(0) lgkmcnt(0)
	v_div_scale_f32 v16, s[14:15], v11, v11, v15
	v_div_scale_f32 v17, vcc, v15, v11, v15
	v_rcp_f32_e32 v18, v16
	v_fma_f32 v19, -v16, v18, 1.0
	v_fmac_f32_e32 v18, v19, v18
	v_mul_f32_e32 v19, v17, v18
	v_fma_f32 v20, -v16, v19, v17
	v_fmac_f32_e32 v19, v20, v18
	v_fma_f32 v16, -v16, v19, v17
	v_div_fmas_f32 v16, v16, v18, v19
	v_div_fixup_f32 v11, v16, v11, v15
	ds_write_b32 v12, v11
.LBB8_149:                              ;   in Loop: Header=BB8_143 Depth=2
	s_or_b64 exec, exec, s[2:3]
	v_cmp_le_u32_e32 vcc, s17, v0
	v_add_u32_e32 v11, -2, v9
	s_waitcnt lgkmcnt(0)
	s_barrier
	s_and_saveexec_b64 s[2:3], vcc
	s_xor_b64 s[2:3], exec, s[2:3]
; %bb.150:                              ;   in Loop: Header=BB8_143 Depth=2
	v_add_u32_e32 v9, -2, v9
                                        ; implicit-def: $vgpr11
                                        ; implicit-def: $vgpr10
; %bb.151:                              ;   in Loop: Header=BB8_143 Depth=2
	s_andn2_saveexec_b64 s[2:3], s[2:3]
	s_cbranch_execz .LBB8_142
; %bb.152:                              ;   in Loop: Header=BB8_143 Depth=2
	v_or_b32_e32 v9, v4, v11
	v_cmp_lt_i32_e32 vcc, -1, v9
	s_and_saveexec_b64 s[14:15], vcc
	s_cbranch_execz .LBB8_141
; %bb.153:                              ;   in Loop: Header=BB8_143 Depth=2
	v_mad_u64_u32 v[9:10], s[18:19], v10, v11, 0
	v_lshlrev_b64 v[9:10], 1, v[9:10]
	v_and_b32_e32 v9, -4, v9
	v_add_co_u32_e32 v9, vcc, v2, v9
	v_addc_co_u32_e32 v10, vcc, v7, v10, vcc
	flat_load_dword v9, v[9:10]
	v_mov_b32_e32 v10, s16
	ds_read_b32 v10, v10
	ds_read_b32 v15, v12
	s_waitcnt vmcnt(0) lgkmcnt(0)
	v_fma_f32 v9, -v9, v10, v15
	ds_write_b32 v12, v9
	s_branch .LBB8_141
.LBB8_154:                              ;   in Loop: Header=BB8_138 Depth=1
	s_add_i32 s7, s28, 0xfffffe00
	s_cmp_lt_i32 s28, 1
	s_cselect_b64 s[2:3], -1, 0
	s_and_b64 vcc, exec, s[2:3]
	s_waitcnt lgkmcnt(0)
	s_barrier
	s_cbranch_vccnz .LBB8_178
; %bb.155:                              ;   in Loop: Header=BB8_138 Depth=1
	v_mov_b32_e32 v6, v1
	s_mov_b64 s[8:9], 0
	v_mov_b32_e32 v5, v0
	s_mov_b32 s29, s7
                                        ; implicit-def: $sgpr14_sgpr15
	s_branch .LBB8_158
.LBB8_156:                              ;   in Loop: Header=BB8_158 Depth=2
	v_mad_u64_u32 v[7:8], s[18:19], s10, v2, 0
	s_add_i32 s20, s29, 0xfffffe00
	s_cmp_lt_i32 s29, 1
	v_mad_u64_u32 v[8:9], s[18:19], s11, v2, v[8:9]
	v_mov_b32_e32 v2, s56
	s_cselect_b64 s[18:19], -1, 0
	v_lshlrev_b64 v[7:8], 2, v[7:8]
	s_andn2_b64 s[14:15], s[14:15], exec
	v_add_co_u32_e32 v7, vcc, s33, v7
	v_addc_co_u32_e32 v8, vcc, v2, v8, vcc
	flat_load_dword v2, v[7:8]
	v_add_co_u32_e32 v5, vcc, 0xfffffe00, v5
	s_and_b64 s[18:19], s[18:19], exec
	v_addc_co_u32_e32 v6, vcc, -1, v6, vcc
	s_or_b64 s[14:15], s[14:15], s[18:19]
	s_mov_b32 s29, s20
	s_waitcnt vmcnt(0) lgkmcnt(0)
	v_sub_f32_e32 v2, v2, v15
	flat_store_dword v[7:8], v2
.LBB8_157:                              ;   in Loop: Header=BB8_158 Depth=2
	s_or_b64 exec, exec, s[16:17]
	s_and_b64 s[16:17], exec, s[14:15]
	s_or_b64 s[8:9], s[16:17], s[8:9]
	s_andn2_b64 exec, exec, s[8:9]
	s_cbranch_execz .LBB8_177
.LBB8_158:                              ;   Parent Loop BB8_138 Depth=1
                                        ; =>  This Loop Header: Depth=2
                                        ;       Child Loop BB8_161 Depth 3
	v_add_u32_e32 v2, s29, v0
	v_cmp_lt_i32_e32 vcc, -1, v2
	s_or_b64 s[14:15], s[14:15], exec
	s_and_saveexec_b64 s[16:17], vcc
	s_cbranch_execz .LBB8_157
; %bb.159:                              ;   in Loop: Header=BB8_158 Depth=2
	v_lshlrev_b64 v[7:8], 2, v[2:3]
	v_mov_b32_e32 v15, 0
	v_add_co_u32_e32 v16, vcc, s6, v7
	v_addc_co_u32_e32 v17, vcc, v14, v8, vcc
	v_add_co_u32_e32 v18, vcc, 0xfffffdfd, v5
	v_add_co_u32_e32 v19, vcc, 0xfffffdfe, v5
	;; [unrolled: 1-line block ×4, first 2 shown]
	s_movk_i32 s30, 0x1000
	s_mov_b64 s[18:19], 0
	s_branch .LBB8_161
.LBB8_160:                              ;   in Loop: Header=BB8_161 Depth=3
	s_or_b64 exec, exec, s[20:21]
	s_waitcnt lgkmcnt(0)
	v_add_f32_e32 v7, v15, v22
	s_add_i32 s30, s30, 16
	v_add_f32_e32 v7, v7, v11
	s_add_u32 s18, s18, 4
	v_add_f32_e32 v7, v7, v23
	s_addc_u32 s19, s19, 0
	s_cmpk_eq_i32 s18, 0x200
	v_add_f32_e32 v15, v7, v8
	s_cbranch_scc1 .LBB8_156
.LBB8_161:                              ;   Parent Loop BB8_138 Depth=1
                                        ;     Parent Loop BB8_158 Depth=2
                                        ; =>    This Inner Loop Header: Depth=3
	v_cmp_ne_u32_e32 vcc, s18, v21
	s_or_b64 s[24:25], s[4:5], vcc
                                        ; implicit-def: $vgpr22
                                        ; implicit-def: $sgpr20_sgpr21
                                        ; implicit-def: $sgpr22_sgpr23
	s_and_saveexec_b64 s[34:35], s[24:25]
	s_xor_b64 s[24:25], exec, s[34:35]
	s_cbranch_execz .LBB8_163
; %bb.162:                              ;   in Loop: Header=BB8_161 Depth=3
	s_add_u32 s20, s27, s18
	s_addc_u32 s21, s26, s19
	s_add_u32 s22, s20, 0xfffffe01
	s_addc_u32 s23, s21, 0
	;; [unrolled: 2-line block ×3, first 2 shown]
	s_mul_i32 s34, s22, s34
	s_mul_hi_u32 s35, s22, s31
	s_add_i32 s35, s35, s34
	s_mul_i32 s34, s22, s31
	s_lshl_b64 s[34:35], s[34:35], 1
	s_and_b32 s31, s34, -4
	v_mov_b32_e32 v8, s35
	v_add_co_u32_e32 v7, vcc, s31, v16
	v_addc_co_u32_e32 v8, vcc, v17, v8, vcc
	flat_load_dword v7, v[7:8]
	v_mov_b32_e32 v8, s30
	ds_read_b32 v8, v8
	s_waitcnt vmcnt(0) lgkmcnt(0)
	v_mul_f32_e32 v22, v7, v8
.LBB8_163:                              ;   in Loop: Header=BB8_161 Depth=3
	s_or_saveexec_b64 s[24:25], s[24:25]
	v_mov_b32_e32 v10, s22
	v_mov_b32_e32 v7, s20
	;; [unrolled: 1-line block ×4, first 2 shown]
	s_xor_b64 exec, exec, s[24:25]
	s_cbranch_execz .LBB8_165
; %bb.164:                              ;   in Loop: Header=BB8_161 Depth=3
	v_mov_b32_e32 v7, s30
	ds_read_b32 v22, v7
	s_add_u32 s20, s27, s18
	s_addc_u32 s21, s26, s19
	s_add_u32 s22, s20, 0xfffffe01
	s_addc_u32 s23, s21, 0
	v_mov_b32_e32 v10, s22
	v_mov_b32_e32 v7, s20
	;; [unrolled: 1-line block ×4, first 2 shown]
.LBB8_165:                              ;   in Loop: Header=BB8_161 Depth=3
	s_or_b64 exec, exec, s[24:25]
	v_cmp_ne_u32_e32 vcc, s18, v20
	s_or_b64 s[20:21], s[4:5], vcc
                                        ; implicit-def: $vgpr11
                                        ; implicit-def: $vgpr8_vgpr9
	s_and_saveexec_b64 s[22:23], s[20:21]
	s_xor_b64 s[20:21], exec, s[22:23]
	s_cbranch_execz .LBB8_167
; %bb.166:                              ;   in Loop: Header=BB8_161 Depth=3
	v_add_co_u32_e32 v8, vcc, 0xfffffe02, v7
	v_mad_u64_u32 v[9:10], s[22:23], v8, v10, 0
	v_lshlrev_b64 v[9:10], 1, v[9:10]
	v_and_b32_e32 v9, -4, v9
	v_add_co_u32_e32 v9, vcc, v16, v9
	v_addc_co_u32_e32 v10, vcc, v17, v10, vcc
	flat_load_dword v9, v[9:10]
	v_mov_b32_e32 v10, s30
	ds_read_b32 v10, v10 offset:4
	s_waitcnt vmcnt(0) lgkmcnt(0)
	v_mul_f32_e32 v11, v9, v10
.LBB8_167:                              ;   in Loop: Header=BB8_161 Depth=3
	s_andn2_saveexec_b64 s[20:21], s[20:21]
; %bb.168:                              ;   in Loop: Header=BB8_161 Depth=3
	v_mov_b32_e32 v8, s30
	ds_read_b32 v11, v8 offset:4
	v_add_co_u32_e32 v8, vcc, 0xfffffe02, v7
; %bb.169:                              ;   in Loop: Header=BB8_161 Depth=3
	s_or_b64 exec, exec, s[20:21]
	v_cmp_ne_u32_e32 vcc, s18, v19
	s_or_b64 s[20:21], s[4:5], vcc
                                        ; implicit-def: $vgpr23
                                        ; implicit-def: $vgpr9_vgpr10
	s_and_saveexec_b64 s[22:23], s[20:21]
	s_xor_b64 s[20:21], exec, s[22:23]
	s_cbranch_execz .LBB8_171
; %bb.170:                              ;   in Loop: Header=BB8_161 Depth=3
	v_add_co_u32_e32 v9, vcc, 0xfffffe03, v7
	v_mad_u64_u32 v[23:24], s[22:23], v9, v8, 0
	v_mov_b32_e32 v10, s30
	ds_read_b32 v10, v10 offset:8
	v_lshlrev_b64 v[23:24], 1, v[23:24]
	v_and_b32_e32 v8, -4, v23
	v_add_co_u32_e32 v23, vcc, v16, v8
	v_addc_co_u32_e32 v24, vcc, v17, v24, vcc
	flat_load_dword v8, v[23:24]
	s_waitcnt vmcnt(0) lgkmcnt(0)
	v_mul_f32_e32 v23, v8, v10
.LBB8_171:                              ;   in Loop: Header=BB8_161 Depth=3
	s_andn2_saveexec_b64 s[20:21], s[20:21]
; %bb.172:                              ;   in Loop: Header=BB8_161 Depth=3
	v_mov_b32_e32 v8, s30
	ds_read_b32 v23, v8 offset:8
	v_add_co_u32_e32 v9, vcc, 0xfffffe03, v7
; %bb.173:                              ;   in Loop: Header=BB8_161 Depth=3
	s_or_b64 exec, exec, s[20:21]
	v_cmp_ne_u32_e32 vcc, s18, v18
	s_or_b64 s[20:21], s[4:5], vcc
                                        ; implicit-def: $vgpr8
	s_and_saveexec_b64 s[22:23], s[20:21]
	s_xor_b64 s[20:21], exec, s[22:23]
	s_cbranch_execz .LBB8_175
; %bb.174:                              ;   in Loop: Header=BB8_161 Depth=3
	v_add_u32_e32 v7, 0xfffffe04, v7
	v_mad_u64_u32 v[7:8], s[22:23], v7, v9, 0
	v_lshlrev_b64 v[7:8], 1, v[7:8]
	v_and_b32_e32 v7, -4, v7
	v_add_co_u32_e32 v7, vcc, v16, v7
	v_addc_co_u32_e32 v8, vcc, v17, v8, vcc
	flat_load_dword v7, v[7:8]
	v_mov_b32_e32 v8, s30
	ds_read_b32 v8, v8 offset:12
	s_waitcnt vmcnt(0) lgkmcnt(0)
	v_mul_f32_e32 v8, v7, v8
.LBB8_175:                              ;   in Loop: Header=BB8_161 Depth=3
	s_andn2_saveexec_b64 s[20:21], s[20:21]
	s_cbranch_execz .LBB8_160
; %bb.176:                              ;   in Loop: Header=BB8_161 Depth=3
	v_mov_b32_e32 v7, s30
	ds_read_b32 v8, v7 offset:12
	s_branch .LBB8_160
.LBB8_177:                              ;   in Loop: Header=BB8_138 Depth=1
	s_or_b64 exec, exec, s[8:9]
.LBB8_178:                              ;   in Loop: Header=BB8_138 Depth=1
	s_and_saveexec_b64 s[8:9], s[0:1]
	s_cbranch_execz .LBB8_137
; %bb.179:                              ;   in Loop: Header=BB8_138 Depth=1
	v_mad_u64_u32 v[5:6], s[0:1], s10, v4, 0
	v_mov_b32_e32 v2, v6
	v_mad_u64_u32 v[6:7], s[0:1], s11, v4, v[2:3]
	ds_read_b32 v2, v12
	v_mov_b32_e32 v7, s56
	v_lshlrev_b64 v[4:5], 2, v[5:6]
	v_add_co_u32_e32 v4, vcc, s33, v4
	v_addc_co_u32_e32 v5, vcc, v7, v5, vcc
	s_waitcnt lgkmcnt(0)
	flat_store_dword v[4:5], v2
	s_branch .LBB8_137
.LBB8_180:
	s_endpgm
	.section	.rodata,"a",@progbits
	.p2align	6, 0x0
	.amdhsa_kernel _ZL19rocblas_tpsv_kernelILb1ELi512EPKPKfPKPfEv18rocblas_operation_bbiT1_llT2_lll
		.amdhsa_group_segment_fixed_size 8192
		.amdhsa_private_segment_fixed_size 0
		.amdhsa_kernarg_size 72
		.amdhsa_user_sgpr_count 6
		.amdhsa_user_sgpr_private_segment_buffer 1
		.amdhsa_user_sgpr_dispatch_ptr 0
		.amdhsa_user_sgpr_queue_ptr 0
		.amdhsa_user_sgpr_kernarg_segment_ptr 1
		.amdhsa_user_sgpr_dispatch_id 0
		.amdhsa_user_sgpr_flat_scratch_init 0
		.amdhsa_user_sgpr_private_segment_size 0
		.amdhsa_uses_dynamic_stack 0
		.amdhsa_system_sgpr_private_segment_wavefront_offset 0
		.amdhsa_system_sgpr_workgroup_id_x 1
		.amdhsa_system_sgpr_workgroup_id_y 0
		.amdhsa_system_sgpr_workgroup_id_z 0
		.amdhsa_system_sgpr_workgroup_info 0
		.amdhsa_system_vgpr_workitem_id 0
		.amdhsa_next_free_vgpr 26
		.amdhsa_next_free_sgpr 62
		.amdhsa_reserve_vcc 1
		.amdhsa_reserve_flat_scratch 0
		.amdhsa_float_round_mode_32 0
		.amdhsa_float_round_mode_16_64 0
		.amdhsa_float_denorm_mode_32 3
		.amdhsa_float_denorm_mode_16_64 3
		.amdhsa_dx10_clamp 1
		.amdhsa_ieee_mode 1
		.amdhsa_fp16_overflow 0
		.amdhsa_exception_fp_ieee_invalid_op 0
		.amdhsa_exception_fp_denorm_src 0
		.amdhsa_exception_fp_ieee_div_zero 0
		.amdhsa_exception_fp_ieee_overflow 0
		.amdhsa_exception_fp_ieee_underflow 0
		.amdhsa_exception_fp_ieee_inexact 0
		.amdhsa_exception_int_div_zero 0
	.end_amdhsa_kernel
	.section	.text._ZL19rocblas_tpsv_kernelILb1ELi512EPKPKfPKPfEv18rocblas_operation_bbiT1_llT2_lll,"axG",@progbits,_ZL19rocblas_tpsv_kernelILb1ELi512EPKPKfPKPfEv18rocblas_operation_bbiT1_llT2_lll,comdat
.Lfunc_end8:
	.size	_ZL19rocblas_tpsv_kernelILb1ELi512EPKPKfPKPfEv18rocblas_operation_bbiT1_llT2_lll, .Lfunc_end8-_ZL19rocblas_tpsv_kernelILb1ELi512EPKPKfPKPfEv18rocblas_operation_bbiT1_llT2_lll
                                        ; -- End function
	.set _ZL19rocblas_tpsv_kernelILb1ELi512EPKPKfPKPfEv18rocblas_operation_bbiT1_llT2_lll.num_vgpr, 26
	.set _ZL19rocblas_tpsv_kernelILb1ELi512EPKPKfPKPfEv18rocblas_operation_bbiT1_llT2_lll.num_agpr, 0
	.set _ZL19rocblas_tpsv_kernelILb1ELi512EPKPKfPKPfEv18rocblas_operation_bbiT1_llT2_lll.numbered_sgpr, 62
	.set _ZL19rocblas_tpsv_kernelILb1ELi512EPKPKfPKPfEv18rocblas_operation_bbiT1_llT2_lll.num_named_barrier, 0
	.set _ZL19rocblas_tpsv_kernelILb1ELi512EPKPKfPKPfEv18rocblas_operation_bbiT1_llT2_lll.private_seg_size, 0
	.set _ZL19rocblas_tpsv_kernelILb1ELi512EPKPKfPKPfEv18rocblas_operation_bbiT1_llT2_lll.uses_vcc, 1
	.set _ZL19rocblas_tpsv_kernelILb1ELi512EPKPKfPKPfEv18rocblas_operation_bbiT1_llT2_lll.uses_flat_scratch, 0
	.set _ZL19rocblas_tpsv_kernelILb1ELi512EPKPKfPKPfEv18rocblas_operation_bbiT1_llT2_lll.has_dyn_sized_stack, 0
	.set _ZL19rocblas_tpsv_kernelILb1ELi512EPKPKfPKPfEv18rocblas_operation_bbiT1_llT2_lll.has_recursion, 0
	.set _ZL19rocblas_tpsv_kernelILb1ELi512EPKPKfPKPfEv18rocblas_operation_bbiT1_llT2_lll.has_indirect_call, 0
	.section	.AMDGPU.csdata,"",@progbits
; Kernel info:
; codeLenInByte = 7028
; TotalNumSgprs: 66
; NumVgprs: 26
; ScratchSize: 0
; MemoryBound: 0
; FloatMode: 240
; IeeeMode: 1
; LDSByteSize: 8192 bytes/workgroup (compile time only)
; SGPRBlocks: 8
; VGPRBlocks: 6
; NumSGPRsForWavesPerEU: 66
; NumVGPRsForWavesPerEU: 26
; Occupancy: 9
; WaveLimiterHint : 1
; COMPUTE_PGM_RSRC2:SCRATCH_EN: 0
; COMPUTE_PGM_RSRC2:USER_SGPR: 6
; COMPUTE_PGM_RSRC2:TRAP_HANDLER: 0
; COMPUTE_PGM_RSRC2:TGID_X_EN: 1
; COMPUTE_PGM_RSRC2:TGID_Y_EN: 0
; COMPUTE_PGM_RSRC2:TGID_Z_EN: 0
; COMPUTE_PGM_RSRC2:TIDIG_COMP_CNT: 0
	.section	.text._ZL19rocblas_tpsv_kernelILb0ELi512EPKPKfPKPfEv18rocblas_operation_bbiT1_llT2_lll,"axG",@progbits,_ZL19rocblas_tpsv_kernelILb0ELi512EPKPKfPKPfEv18rocblas_operation_bbiT1_llT2_lll,comdat
	.globl	_ZL19rocblas_tpsv_kernelILb0ELi512EPKPKfPKPfEv18rocblas_operation_bbiT1_llT2_lll ; -- Begin function _ZL19rocblas_tpsv_kernelILb0ELi512EPKPKfPKPfEv18rocblas_operation_bbiT1_llT2_lll
	.p2align	8
	.type	_ZL19rocblas_tpsv_kernelILb0ELi512EPKPKfPKPfEv18rocblas_operation_bbiT1_llT2_lll,@function
_ZL19rocblas_tpsv_kernelILb0ELi512EPKPKfPKPfEv18rocblas_operation_bbiT1_llT2_lll: ; @_ZL19rocblas_tpsv_kernelILb0ELi512EPKPKfPKPfEv18rocblas_operation_bbiT1_llT2_lll
; %bb.0:
	s_load_dwordx2 s[22:23], s[4:5], 0x0
	s_load_dwordx2 s[14:15], s[4:5], 0x4
	s_load_dwordx4 s[0:3], s[4:5], 0x10
	s_load_dwordx2 s[24:25], s[4:5], 0x28
	s_mov_b32 s7, 0
	s_waitcnt lgkmcnt(0)
	s_bitcmp1_b32 s23, 0
	s_cselect_b64 s[8:9], -1, 0
	s_xor_b64 s[20:21], s[8:9], -1
	s_bitcmp1_b32 s14, 8
	s_cselect_b64 s[12:13], -1, 0
	s_lshl_b64 s[26:27], s[6:7], 3
	s_add_u32 s0, s0, s26
	s_addc_u32 s1, s1, s27
	s_load_dwordx2 s[16:17], s[0:1], 0x0
	s_load_dwordx4 s[8:11], s[4:5], 0x30
	s_lshl_b64 s[18:19], s[2:3], 2
	s_waitcnt lgkmcnt(0)
	s_add_u32 s6, s16, s18
	s_addc_u32 s7, s17, s19
	s_add_u32 s0, s24, s26
	s_addc_u32 s1, s25, s27
	s_load_dwordx2 s[0:1], s[0:1], 0x0
	s_lshl_b64 s[2:3], s[8:9], 2
	s_waitcnt lgkmcnt(0)
	s_add_u32 s33, s0, s2
	s_addc_u32 s56, s1, s3
	s_cmp_gt_i32 s15, 0
	s_cselect_b64 s[8:9], -1, 0
	s_cmpk_lg_i32 s22, 0x6f
	s_mov_b64 s[0:1], -1
	s_cbranch_scc0 .LBB9_93
; %bb.1:
	s_and_b64 vcc, exec, s[20:21]
	s_cbranch_vccz .LBB9_44
; %bb.2:
	s_andn2_b64 vcc, exec, s[8:9]
	s_cbranch_vccnz .LBB9_43
; %bb.3:
	s_lshl_b32 s2, s15, 1
	s_ashr_i32 s1, s15, 31
	s_mov_b32 s0, s15
	s_add_i32 s28, s15, 0xfffffe00
	s_or_b32 s14, s2, 1
	s_lshl_b64 s[0:1], s[0:1], 2
	s_add_u32 s0, s18, s0
	s_addc_u32 s1, s19, s1
	s_add_u32 s0, s16, s0
	v_mov_b32_e32 v1, 0x800
	s_addc_u32 s1, s17, s1
	v_lshl_or_b32 v7, v0, 2, v1
	s_add_u32 s4, s0, 0xfffff800
	v_add_u32_e32 v1, s15, v0
	v_xor_b32_e32 v8, 0x1ff, v0
	s_addc_u32 s5, s1, -1
	v_add_u32_e32 v9, 0xfffffc00, v1
	s_ashr_i32 s34, s2, 31
	v_mov_b32_e32 v2, 0
	v_mov_b32_e32 v10, s7
	s_movk_i32 s35, 0x400
	s_movk_i32 s36, 0x401
	;; [unrolled: 1-line block ×4, first 2 shown]
	s_xor_b64 s[22:23], s[12:13], -1
	s_movk_i32 s39, 0x800
	s_branch .LBB9_5
.LBB9_4:                                ;   in Loop: Header=BB9_5 Depth=1
	s_or_b64 exec, exec, s[24:25]
	s_add_u32 s4, s4, 0xfffff800
	s_addc_u32 s5, s5, -1
	v_add_u32_e32 v9, 0xfffffe00, v9
	s_andn2_b64 vcc, exec, s[2:3]
	s_mov_b32 s28, s40
	s_waitcnt vmcnt(0) lgkmcnt(0)
	s_barrier
	s_cbranch_vccz .LBB9_43
.LBB9_5:                                ; =>This Loop Header: Depth=1
                                        ;     Child Loop BB9_9 Depth 2
                                        ;     Child Loop BB9_21 Depth 2
                                        ;       Child Loop BB9_24 Depth 3
	v_add_u32_e32 v11, s28, v0
	v_cmp_gt_i32_e64 s[2:3], 0, v11
	v_cmp_lt_i32_e64 s[0:1], -1, v11
	s_and_saveexec_b64 s[24:25], s[0:1]
	s_cbranch_execz .LBB9_7
; %bb.6:                                ;   in Loop: Header=BB9_5 Depth=1
	v_mad_u64_u32 v[3:4], s[26:27], s10, v11, 0
	v_mov_b32_e32 v1, v4
	v_mad_u64_u32 v[4:5], s[26:27], s11, v11, v[1:2]
	v_mov_b32_e32 v1, s56
	v_lshlrev_b64 v[3:4], 2, v[3:4]
	v_add_co_u32_e32 v3, vcc, s33, v3
	v_addc_co_u32_e32 v4, vcc, v1, v4, vcc
	flat_load_dword v1, v[3:4]
	s_waitcnt vmcnt(0) lgkmcnt(0)
	ds_write_b32 v7, v1
.LBB9_7:                                ;   in Loop: Header=BB9_5 Depth=1
	s_or_b64 exec, exec, s[24:25]
	v_sub_u32_e32 v1, s14, v11
	v_mad_u64_u32 v[3:4], s[24:25], v11, v1, 0
	v_ashrrev_i32_e32 v5, 31, v1
	s_not_b32 s29, s28
	v_mov_b32_e32 v1, v4
	v_mad_u64_u32 v[4:5], s[24:25], v11, v5, v[1:2]
	s_or_b64 s[24:25], s[12:13], s[2:3]
	s_movk_i32 s30, 0x1ff
	v_lshlrev_b64 v[3:4], 1, v[3:4]
	s_movk_i32 s31, 0xff8
	v_and_b32_e32 v1, -4, v3
	v_add_co_u32_e32 v3, vcc, s6, v1
	v_addc_co_u32_e32 v4, vcc, v10, v4, vcc
	s_xor_b64 s[24:25], s[24:25], -1
	v_mov_b32_e32 v1, v8
	s_waitcnt lgkmcnt(0)
	s_barrier
	s_branch .LBB9_9
.LBB9_8:                                ;   in Loop: Header=BB9_9 Depth=2
	s_or_b64 exec, exec, s[26:27]
	s_add_i32 s30, s30, -2
	s_add_i32 s31, s31, -8
	s_cmp_eq_u32 s40, 0
	v_add_u32_e32 v1, -2, v1
	s_cbranch_scc1 .LBB9_17
.LBB9_9:                                ;   Parent Loop BB9_5 Depth=1
                                        ; =>  This Inner Loop Header: Depth=2
	v_cmp_eq_u32_e32 vcc, 0, v1
	s_and_b64 s[40:41], vcc, s[24:25]
	s_and_saveexec_b64 s[26:27], s[40:41]
	s_cbranch_execz .LBB9_11
; %bb.10:                               ;   in Loop: Header=BB9_9 Depth=2
	flat_load_dword v5, v[3:4]
	ds_read_b32 v6, v7
	s_waitcnt vmcnt(0) lgkmcnt(0)
	v_div_scale_f32 v12, s[40:41], v5, v5, v6
	v_div_scale_f32 v13, vcc, v6, v5, v6
	v_rcp_f32_e32 v14, v12
	v_fma_f32 v15, -v12, v14, 1.0
	v_fmac_f32_e32 v14, v15, v14
	v_mul_f32_e32 v15, v13, v14
	v_fma_f32 v16, -v12, v15, v13
	v_fmac_f32_e32 v15, v16, v14
	v_fma_f32 v12, -v12, v15, v13
	v_div_fmas_f32 v12, v12, v14, v15
	v_div_fixup_f32 v5, v12, v5, v6
	ds_write_b32 v7, v5
.LBB9_11:                               ;   in Loop: Header=BB9_9 Depth=2
	s_or_b64 exec, exec, s[26:27]
	s_cmp_le_i32 s30, s29
	v_cmp_le_u32_e32 vcc, s30, v0
	s_cselect_b64 s[26:27], -1, 0
	s_or_b64 s[26:27], vcc, s[26:27]
	s_nor_b64 s[40:41], s[2:3], s[26:27]
	s_waitcnt lgkmcnt(0)
	s_barrier
	s_and_saveexec_b64 s[26:27], s[40:41]
	s_cbranch_execz .LBB9_13
; %bb.12:                               ;   in Loop: Header=BB9_9 Depth=2
	v_lshlrev_b64 v[5:6], 2, v[1:2]
	v_add_co_u32_e32 v5, vcc, v3, v5
	v_addc_co_u32_e32 v6, vcc, v4, v6, vcc
	flat_load_dword v5, v[5:6]
	v_mov_b32_e32 v6, s31
	ds_read_b32 v6, v6 offset:4
	ds_read_b32 v12, v7
	s_waitcnt vmcnt(0) lgkmcnt(0)
	v_fma_f32 v5, -v5, v6, v12
	ds_write_b32 v7, v5
.LBB9_13:                               ;   in Loop: Header=BB9_9 Depth=2
	s_or_b64 exec, exec, s[26:27]
	s_add_i32 s40, s30, -1
	v_cmp_eq_u32_e32 vcc, s40, v0
	s_and_b64 s[42:43], vcc, s[24:25]
	s_and_saveexec_b64 s[26:27], s[42:43]
	s_cbranch_execz .LBB9_15
; %bb.14:                               ;   in Loop: Header=BB9_9 Depth=2
	flat_load_dword v5, v[3:4]
	ds_read_b32 v6, v7
	s_waitcnt vmcnt(0) lgkmcnt(0)
	v_div_scale_f32 v12, s[42:43], v5, v5, v6
	v_div_scale_f32 v13, vcc, v6, v5, v6
	v_rcp_f32_e32 v14, v12
	v_fma_f32 v15, -v12, v14, 1.0
	v_fmac_f32_e32 v14, v15, v14
	v_mul_f32_e32 v15, v13, v14
	v_fma_f32 v16, -v12, v15, v13
	v_fmac_f32_e32 v15, v16, v14
	v_fma_f32 v12, -v12, v15, v13
	v_div_fmas_f32 v12, v12, v14, v15
	v_div_fixup_f32 v5, v12, v5, v6
	ds_write_b32 v7, v5
.LBB9_15:                               ;   in Loop: Header=BB9_9 Depth=2
	s_or_b64 exec, exec, s[26:27]
	s_cmp_le_i32 s40, s29
	v_cmp_le_u32_e32 vcc, s40, v0
	s_cselect_b64 s[26:27], -1, 0
	s_or_b64 s[26:27], vcc, s[26:27]
	s_nor_b64 s[42:43], s[2:3], s[26:27]
	s_waitcnt lgkmcnt(0)
	s_barrier
	s_and_saveexec_b64 s[26:27], s[42:43]
	s_cbranch_execz .LBB9_8
; %bb.16:                               ;   in Loop: Header=BB9_9 Depth=2
	v_add_u32_e32 v5, -1, v1
	v_mov_b32_e32 v6, v2
	v_lshlrev_b64 v[5:6], 2, v[5:6]
	v_add_co_u32_e32 v5, vcc, v3, v5
	v_addc_co_u32_e32 v6, vcc, v4, v6, vcc
	flat_load_dword v5, v[5:6]
	v_mov_b32_e32 v6, s31
	ds_read_b32 v6, v6
	ds_read_b32 v12, v7
	s_waitcnt vmcnt(0) lgkmcnt(0)
	v_fma_f32 v5, -v5, v6, v12
	ds_write_b32 v7, v5
	s_branch .LBB9_8
.LBB9_17:                               ;   in Loop: Header=BB9_5 Depth=1
	s_add_i32 s40, s28, 0xfffffe00
	s_cmp_lt_i32 s28, 1
	s_cselect_b64 s[2:3], -1, 0
	s_and_b64 vcc, exec, s[2:3]
	s_waitcnt lgkmcnt(0)
	s_barrier
	s_cbranch_vccnz .LBB9_41
; %bb.18:                               ;   in Loop: Header=BB9_5 Depth=1
	v_mad_i64_i32 v[3:4], s[24:25], v9, -4, s[4:5]
	v_ashrrev_i32_e32 v5, 31, v9
	v_mov_b32_e32 v6, s34
	v_sub_co_u32_e32 v1, vcc, s14, v9
	v_subb_co_u32_e32 v12, vcc, v6, v5, vcc
	s_mov_b64 s[24:25], 0
	v_mov_b32_e32 v13, v9
	v_mov_b32_e32 v14, v0
	s_mov_b32 s41, s40
                                        ; implicit-def: $sgpr26_sgpr27
	s_branch .LBB9_21
.LBB9_19:                               ;   in Loop: Header=BB9_21 Depth=2
	v_mad_u64_u32 v[5:6], s[30:31], s10, v16, 0
	s_add_i32 s42, s41, 0xfffffe00
	s_cmp_lt_i32 s41, 1
	v_mad_u64_u32 v[16:17], s[30:31], s11, v16, v[6:7]
	v_mov_b32_e32 v17, s56
	s_cselect_b64 s[30:31], -1, 0
	v_mov_b32_e32 v6, v16
	v_lshlrev_b64 v[5:6], 2, v[5:6]
	s_andn2_b64 s[26:27], s[26:27], exec
	v_add_co_u32_e32 v5, vcc, s33, v5
	v_addc_co_u32_e32 v6, vcc, v17, v6, vcc
	flat_load_dword v16, v[5:6]
	v_add_co_u32_e32 v3, vcc, s39, v3
	v_addc_co_u32_e32 v4, vcc, 0, v4, vcc
	v_add_co_u32_e32 v1, vcc, 0x200, v1
	s_and_b64 s[30:31], s[30:31], exec
	v_add_u32_e32 v14, 0xfffffe00, v14
	v_add_u32_e32 v13, 0xfffffe00, v13
	v_addc_co_u32_e32 v12, vcc, 0, v12, vcc
	s_or_b64 s[26:27], s[26:27], s[30:31]
	s_mov_b32 s41, s42
	s_waitcnt vmcnt(0) lgkmcnt(0)
	v_sub_f32_e32 v15, v16, v15
	flat_store_dword v[5:6], v15
.LBB9_20:                               ;   in Loop: Header=BB9_21 Depth=2
	s_or_b64 exec, exec, s[28:29]
	s_and_b64 s[28:29], exec, s[26:27]
	s_or_b64 s[24:25], s[28:29], s[24:25]
	s_andn2_b64 exec, exec, s[24:25]
	s_cbranch_execz .LBB9_40
.LBB9_21:                               ;   Parent Loop BB9_5 Depth=1
                                        ; =>  This Loop Header: Depth=2
                                        ;       Child Loop BB9_24 Depth 3
	v_add_u32_e32 v16, s41, v0
	v_cmp_lt_i32_e32 vcc, -1, v16
	s_or_b64 s[26:27], s[26:27], exec
	s_and_saveexec_b64 s[28:29], vcc
	s_cbranch_execz .LBB9_20
; %bb.22:                               ;   in Loop: Header=BB9_21 Depth=2
	v_mad_u64_u32 v[5:6], s[30:31], v1, v13, 0
	v_mov_b32_e32 v15, 0
	s_movk_i32 s42, 0x800
	v_mad_u64_u32 v[17:18], s[30:31], v12, v13, v[6:7]
	s_movk_i32 s43, 0x200
	v_mov_b32_e32 v6, v17
	v_lshlrev_b64 v[5:6], 1, v[5:6]
	v_and_b32_e32 v5, -4, v5
	v_add_co_u32_e32 v5, vcc, v3, v5
	v_addc_co_u32_e32 v6, vcc, v4, v6, vcc
	s_branch .LBB9_24
.LBB9_23:                               ;   in Loop: Header=BB9_24 Depth=3
	s_or_b64 exec, exec, s[30:31]
	s_waitcnt lgkmcnt(0)
	v_add_f32_e32 v15, v15, v17
	v_add_f32_e32 v15, v15, v19
	;; [unrolled: 1-line block ×3, first 2 shown]
	s_add_i32 s42, s42, 16
	s_add_i32 s43, s43, -4
	v_add_co_u32_e32 v5, vcc, 16, v5
	v_add_f32_e32 v15, v15, v18
	s_cmp_eq_u32 s43, 0
	v_addc_co_u32_e32 v6, vcc, 0, v6, vcc
	s_cbranch_scc1 .LBB9_19
.LBB9_24:                               ;   Parent Loop BB9_5 Depth=1
                                        ;     Parent Loop BB9_21 Depth=2
                                        ; =>    This Inner Loop Header: Depth=3
	v_add_u32_e32 v18, s43, v14
	v_cmp_ne_u32_e32 vcc, s35, v18
	s_or_b64 s[30:31], s[22:23], vcc
                                        ; implicit-def: $vgpr17
	s_and_saveexec_b64 s[44:45], s[30:31]
	s_xor_b64 s[30:31], exec, s[44:45]
	s_cbranch_execz .LBB9_26
; %bb.25:                               ;   in Loop: Header=BB9_24 Depth=3
	flat_load_dword v17, v[5:6]
	v_mov_b32_e32 v19, s42
	ds_read_b32 v19, v19
	s_waitcnt vmcnt(0) lgkmcnt(0)
	v_mul_f32_e32 v17, v17, v19
.LBB9_26:                               ;   in Loop: Header=BB9_24 Depth=3
	s_andn2_saveexec_b64 s[30:31], s[30:31]
; %bb.27:                               ;   in Loop: Header=BB9_24 Depth=3
	v_mov_b32_e32 v17, s42
	ds_read_b32 v17, v17
; %bb.28:                               ;   in Loop: Header=BB9_24 Depth=3
	s_or_b64 exec, exec, s[30:31]
	v_cmp_ne_u32_e32 vcc, s36, v18
	s_or_b64 s[30:31], s[22:23], vcc
                                        ; implicit-def: $vgpr19
	s_and_saveexec_b64 s[44:45], s[30:31]
	s_xor_b64 s[30:31], exec, s[44:45]
	s_cbranch_execz .LBB9_30
; %bb.29:                               ;   in Loop: Header=BB9_24 Depth=3
	flat_load_dword v19, v[5:6] offset:4
	v_mov_b32_e32 v20, s42
	ds_read_b32 v20, v20 offset:4
	s_waitcnt vmcnt(0) lgkmcnt(0)
	v_mul_f32_e32 v19, v19, v20
.LBB9_30:                               ;   in Loop: Header=BB9_24 Depth=3
	s_andn2_saveexec_b64 s[30:31], s[30:31]
; %bb.31:                               ;   in Loop: Header=BB9_24 Depth=3
	v_mov_b32_e32 v19, s42
	ds_read_b32 v19, v19 offset:4
; %bb.32:                               ;   in Loop: Header=BB9_24 Depth=3
	s_or_b64 exec, exec, s[30:31]
	v_cmp_ne_u32_e32 vcc, s37, v18
	s_or_b64 s[30:31], s[22:23], vcc
                                        ; implicit-def: $vgpr20
	s_and_saveexec_b64 s[44:45], s[30:31]
	s_xor_b64 s[30:31], exec, s[44:45]
	s_cbranch_execz .LBB9_34
; %bb.33:                               ;   in Loop: Header=BB9_24 Depth=3
	flat_load_dword v20, v[5:6] offset:8
	v_mov_b32_e32 v21, s42
	ds_read_b32 v21, v21 offset:8
	s_waitcnt vmcnt(0) lgkmcnt(0)
	v_mul_f32_e32 v20, v20, v21
.LBB9_34:                               ;   in Loop: Header=BB9_24 Depth=3
	s_andn2_saveexec_b64 s[30:31], s[30:31]
; %bb.35:                               ;   in Loop: Header=BB9_24 Depth=3
	v_mov_b32_e32 v20, s42
	ds_read_b32 v20, v20 offset:8
; %bb.36:                               ;   in Loop: Header=BB9_24 Depth=3
	s_or_b64 exec, exec, s[30:31]
	v_cmp_ne_u32_e32 vcc, s38, v18
	s_or_b64 s[30:31], s[22:23], vcc
                                        ; implicit-def: $vgpr18
	s_and_saveexec_b64 s[44:45], s[30:31]
	s_xor_b64 s[30:31], exec, s[44:45]
	s_cbranch_execz .LBB9_38
; %bb.37:                               ;   in Loop: Header=BB9_24 Depth=3
	flat_load_dword v18, v[5:6] offset:12
	v_mov_b32_e32 v21, s42
	ds_read_b32 v21, v21 offset:12
	s_waitcnt vmcnt(0) lgkmcnt(0)
	v_mul_f32_e32 v18, v18, v21
.LBB9_38:                               ;   in Loop: Header=BB9_24 Depth=3
	s_andn2_saveexec_b64 s[30:31], s[30:31]
	s_cbranch_execz .LBB9_23
; %bb.39:                               ;   in Loop: Header=BB9_24 Depth=3
	v_mov_b32_e32 v18, s42
	ds_read_b32 v18, v18 offset:12
	s_branch .LBB9_23
.LBB9_40:                               ;   in Loop: Header=BB9_5 Depth=1
	s_or_b64 exec, exec, s[24:25]
.LBB9_41:                               ;   in Loop: Header=BB9_5 Depth=1
	s_and_saveexec_b64 s[24:25], s[0:1]
	s_cbranch_execz .LBB9_4
; %bb.42:                               ;   in Loop: Header=BB9_5 Depth=1
	v_mad_u64_u32 v[3:4], s[0:1], s10, v11, 0
	v_mov_b32_e32 v1, v4
	v_mad_u64_u32 v[4:5], s[0:1], s11, v11, v[1:2]
	ds_read_b32 v1, v7
	v_mov_b32_e32 v5, s56
	v_lshlrev_b64 v[3:4], 2, v[3:4]
	v_add_co_u32_e32 v3, vcc, s33, v3
	v_addc_co_u32_e32 v4, vcc, v5, v4, vcc
	s_waitcnt lgkmcnt(0)
	flat_store_dword v[3:4], v1
	s_branch .LBB9_4
.LBB9_43:
	s_mov_b64 s[0:1], 0
.LBB9_44:
	s_andn2_b64 vcc, exec, s[0:1]
	s_cbranch_vccnz .LBB9_92
; %bb.45:
	s_andn2_b64 vcc, exec, s[8:9]
	s_cbranch_vccnz .LBB9_92
; %bb.46:
	v_mov_b32_e32 v2, 0
	v_mov_b32_e32 v1, v2
	v_mad_u64_u32 v[3:4], s[0:1], v0, v0, v[0:1]
	v_lshlrev_b32_e32 v1, 10, v0
	v_add_co_u32_e32 v7, vcc, 0x40200, v1
	v_or_b32_e32 v1, 0x200, v0
	v_mov_b32_e32 v6, v2
	v_lshlrev_b32_e32 v13, 2, v0
	v_addc_co_u32_e64 v8, s[0:1], 0, 0, vcc
	s_mov_b32 s14, 0
	v_add_u32_e32 v14, 0x201, v0
	v_mov_b32_e32 v15, s7
	s_xor_b64 s[22:23], s[12:13], -1
	v_mov_b32_e32 v5, v1
	s_mov_b64 s[24:25], s[6:7]
	s_branch .LBB9_48
.LBB9_47:                               ;   in Loop: Header=BB9_48 Depth=1
	s_or_b64 exec, exec, s[4:5]
	v_add_co_u32_e32 v9, vcc, 0x80000, v7
	v_addc_co_u32_e32 v10, vcc, 0, v8, vcc
	v_add_co_u32_e32 v3, vcc, v3, v7
	v_addc_co_u32_e32 v4, vcc, v4, v8, vcc
	v_add_co_u32_e32 v5, vcc, 0x200, v5
	s_add_u32 s24, s24, 0x800
	v_addc_co_u32_e32 v6, vcc, 0, v6, vcc
	v_mov_b32_e32 v7, v9
	s_addc_u32 s25, s25, 0
	v_add_u32_e32 v14, 0x200, v14
	s_and_b64 vcc, exec, s[2:3]
	v_mov_b32_e32 v8, v10
	s_mov_b32 s14, s34
	s_waitcnt vmcnt(0) lgkmcnt(0)
	s_barrier
	s_cbranch_vccnz .LBB9_92
.LBB9_48:                               ; =>This Loop Header: Depth=1
                                        ;     Child Loop BB9_52 Depth 2
                                        ;     Child Loop BB9_66 Depth 2
                                        ;       Child Loop BB9_69 Depth 3
	v_add_u32_e32 v16, s14, v0
	v_cmp_le_i32_e32 vcc, s15, v16
	v_cmp_gt_i32_e64 s[0:1], s15, v16
	s_and_saveexec_b64 s[4:5], s[0:1]
	s_cbranch_execz .LBB9_50
; %bb.49:                               ;   in Loop: Header=BB9_48 Depth=1
	v_mad_u64_u32 v[9:10], s[2:3], s10, v16, 0
	v_mov_b32_e32 v1, v10
	v_mad_u64_u32 v[10:11], s[2:3], s11, v16, v[1:2]
	v_mov_b32_e32 v1, s56
	v_lshlrev_b64 v[9:10], 2, v[9:10]
	v_add_co_u32_e64 v9, s[2:3], s33, v9
	v_addc_co_u32_e64 v10, s[2:3], v1, v10, s[2:3]
	flat_load_dword v1, v[9:10]
	s_waitcnt vmcnt(0) lgkmcnt(0)
	ds_write_b32 v13, v1
.LBB9_50:                               ;   in Loop: Header=BB9_48 Depth=1
	s_or_b64 exec, exec, s[4:5]
	v_lshlrev_b64 v[9:10], 1, v[3:4]
	v_mov_b32_e32 v1, s25
	v_and_b32_e32 v9, -4, v9
	v_add_co_u32_e64 v9, s[2:3], s24, v9
	v_addc_co_u32_e64 v10, s[2:3], v1, v10, s[2:3]
	v_or_b32_e32 v1, s14, v0
	v_add_u32_e32 v11, 1, v1
	v_mad_u64_u32 v[11:12], s[2:3], v11, v1, 0
	v_lshlrev_b64 v[17:18], 2, v[1:2]
	v_cmp_le_i32_e64 s[2:3], s15, v1
	v_lshlrev_b64 v[11:12], 1, v[11:12]
	v_add_co_u32_e64 v1, s[4:5], s6, v17
	v_addc_co_u32_e64 v17, s[4:5], v15, v18, s[4:5]
	v_and_b32_e32 v11, -4, v11
	v_add_co_u32_e64 v11, s[4:5], v1, v11
	v_addc_co_u32_e64 v12, s[4:5], v17, v12, s[4:5]
	s_mov_b32 s28, 0
	s_xor_b64 s[4:5], vcc, -1
	s_mov_b32 s29, 0
	s_waitcnt lgkmcnt(0)
	s_barrier
	s_branch .LBB9_52
.LBB9_51:                               ;   in Loop: Header=BB9_52 Depth=2
	s_or_b64 exec, exec, s[26:27]
	s_add_i32 s28, s28, 8
	s_add_i32 s29, s30, 1
	v_add_co_u32_e32 v9, vcc, 8, v9
	s_cmpk_eq_i32 s29, 0x200
	v_addc_co_u32_e32 v10, vcc, 0, v10, vcc
	s_cbranch_scc1 .LBB9_62
.LBB9_52:                               ;   Parent Loop BB9_48 Depth=1
                                        ; =>  This Inner Loop Header: Depth=2
	v_cmp_ne_u32_e32 vcc, s29, v0
	s_or_b64 s[26:27], s[12:13], vcc
	s_nor_b64 s[30:31], s[26:27], s[2:3]
	s_and_saveexec_b64 s[26:27], s[30:31]
	s_cbranch_execz .LBB9_54
; %bb.53:                               ;   in Loop: Header=BB9_52 Depth=2
	flat_load_dword v1, v[11:12]
	ds_read_b32 v17, v13
	s_waitcnt vmcnt(0) lgkmcnt(0)
	v_div_scale_f32 v18, s[30:31], v1, v1, v17
	v_div_scale_f32 v19, vcc, v17, v1, v17
	v_rcp_f32_e32 v20, v18
	v_fma_f32 v21, -v18, v20, 1.0
	v_fmac_f32_e32 v20, v21, v20
	v_mul_f32_e32 v21, v19, v20
	v_fma_f32 v22, -v18, v21, v19
	v_fmac_f32_e32 v21, v22, v20
	v_fma_f32 v18, -v18, v21, v19
	v_div_fmas_f32 v18, v18, v20, v21
	v_div_fixup_f32 v1, v18, v1, v17
	ds_write_b32 v13, v1
.LBB9_54:                               ;   in Loop: Header=BB9_52 Depth=2
	s_or_b64 exec, exec, s[26:27]
	v_cmp_lt_u32_e32 vcc, s29, v0
	s_waitcnt lgkmcnt(0)
	s_barrier
	s_and_saveexec_b64 s[26:27], vcc
	s_cbranch_execz .LBB9_57
; %bb.55:                               ;   in Loop: Header=BB9_52 Depth=2
	s_add_i32 s30, s14, s29
	s_cmp_lt_i32 s30, s15
	s_cselect_b64 s[30:31], -1, 0
	s_and_b64 s[30:31], s[4:5], s[30:31]
	s_and_b64 exec, exec, s[30:31]
	s_cbranch_execz .LBB9_57
; %bb.56:                               ;   in Loop: Header=BB9_52 Depth=2
	flat_load_dword v1, v[9:10]
	v_mov_b32_e32 v17, s28
	ds_read_b32 v17, v17
	ds_read_b32 v18, v13
	s_waitcnt vmcnt(0) lgkmcnt(0)
	v_fma_f32 v1, -v1, v17, v18
	ds_write_b32 v13, v1
.LBB9_57:                               ;   in Loop: Header=BB9_52 Depth=2
	s_or_b64 exec, exec, s[26:27]
	s_add_i32 s30, s29, 1
	v_cmp_ne_u32_e32 vcc, s30, v0
	s_or_b64 s[26:27], s[12:13], vcc
	s_nor_b64 s[34:35], s[26:27], s[2:3]
	s_and_saveexec_b64 s[26:27], s[34:35]
	s_cbranch_execz .LBB9_59
; %bb.58:                               ;   in Loop: Header=BB9_52 Depth=2
	flat_load_dword v1, v[11:12]
	ds_read_b32 v17, v13
	s_waitcnt vmcnt(0) lgkmcnt(0)
	v_div_scale_f32 v18, s[34:35], v1, v1, v17
	v_div_scale_f32 v19, vcc, v17, v1, v17
	v_rcp_f32_e32 v20, v18
	v_fma_f32 v21, -v18, v20, 1.0
	v_fmac_f32_e32 v20, v21, v20
	v_mul_f32_e32 v21, v19, v20
	v_fma_f32 v22, -v18, v21, v19
	v_fmac_f32_e32 v21, v22, v20
	v_fma_f32 v18, -v18, v21, v19
	v_div_fmas_f32 v18, v18, v20, v21
	v_div_fixup_f32 v1, v18, v1, v17
	ds_write_b32 v13, v1
.LBB9_59:                               ;   in Loop: Header=BB9_52 Depth=2
	s_or_b64 exec, exec, s[26:27]
	v_cmp_lt_u32_e32 vcc, s30, v0
	s_waitcnt lgkmcnt(0)
	s_barrier
	s_and_saveexec_b64 s[26:27], vcc
	s_cbranch_execz .LBB9_51
; %bb.60:                               ;   in Loop: Header=BB9_52 Depth=2
	s_add_i32 s29, s14, s29
	s_add_i32 s29, s29, 1
	s_cmp_lt_i32 s29, s15
	s_cselect_b64 s[34:35], -1, 0
	s_and_b64 s[34:35], s[4:5], s[34:35]
	s_and_b64 exec, exec, s[34:35]
	s_cbranch_execz .LBB9_51
; %bb.61:                               ;   in Loop: Header=BB9_52 Depth=2
	flat_load_dword v1, v[9:10] offset:4
	v_mov_b32_e32 v17, s28
	ds_read_b32 v17, v17 offset:4
	ds_read_b32 v18, v13
	s_waitcnt vmcnt(0) lgkmcnt(0)
	v_fma_f32 v1, -v1, v17, v18
	ds_write_b32 v13, v1
	s_branch .LBB9_51
.LBB9_62:                               ;   in Loop: Header=BB9_48 Depth=1
	s_add_i32 s34, s14, 0x200
	s_cmp_ge_i32 s34, s15
	s_cselect_b64 s[2:3], -1, 0
	s_and_b64 vcc, exec, s[2:3]
	s_waitcnt lgkmcnt(0)
	s_barrier
	s_cbranch_vccnz .LBB9_90
; %bb.63:                               ;   in Loop: Header=BB9_48 Depth=1
	v_mov_b32_e32 v10, v6
	s_mov_b64 s[4:5], 0
	v_mov_b32_e32 v1, v14
	v_mov_b32_e32 v9, v5
	;; [unrolled: 1-line block ×3, first 2 shown]
	s_mov_b32 s35, s34
                                        ; implicit-def: $sgpr26_sgpr27
	s_branch .LBB9_66
.LBB9_64:                               ;   in Loop: Header=BB9_66 Depth=2
	v_mad_u64_u32 v[11:12], s[30:31], s10, v18, 0
	s_addk_i32 s35, 0x200
	s_cmp_ge_i32 s35, s15
	v_mad_u64_u32 v[20:21], s[30:31], s11, v18, v[12:13]
	v_mov_b32_e32 v18, s56
	s_cselect_b64 s[30:31], -1, 0
	v_mov_b32_e32 v12, v20
	v_lshlrev_b64 v[11:12], 2, v[11:12]
	s_andn2_b64 s[26:27], s[26:27], exec
	v_add_co_u32_e32 v11, vcc, s33, v11
	v_addc_co_u32_e32 v12, vcc, v18, v12, vcc
	flat_load_dword v18, v[11:12]
	v_add_co_u32_e32 v9, vcc, 0x200, v9
	s_and_b64 s[30:31], s[30:31], exec
	v_add_u32_e32 v1, 0x200, v1
	v_addc_co_u32_e32 v10, vcc, 0, v10, vcc
	s_or_b64 s[26:27], s[26:27], s[30:31]
	s_waitcnt vmcnt(0) lgkmcnt(0)
	v_sub_f32_e32 v18, v18, v19
	flat_store_dword v[11:12], v18
.LBB9_65:                               ;   in Loop: Header=BB9_66 Depth=2
	s_or_b64 exec, exec, s[28:29]
	s_and_b64 s[28:29], exec, s[26:27]
	s_or_b64 s[4:5], s[28:29], s[4:5]
	s_andn2_b64 exec, exec, s[4:5]
	s_cbranch_execz .LBB9_89
.LBB9_66:                               ;   Parent Loop BB9_48 Depth=1
                                        ; =>  This Loop Header: Depth=2
                                        ;       Child Loop BB9_69 Depth 3
	v_add_u32_e32 v18, s35, v0
	v_cmp_gt_i32_e32 vcc, s15, v18
	s_or_b64 s[26:27], s[26:27], exec
	s_and_saveexec_b64 s[28:29], vcc
	s_cbranch_execz .LBB9_65
; %bb.67:                               ;   in Loop: Header=BB9_66 Depth=2
	v_mad_u64_u32 v[11:12], s[30:31], v9, v1, 0
	v_mov_b32_e32 v21, s25
	v_add_u32_e32 v22, 0x1ff, v17
	v_mad_u64_u32 v[19:20], s[30:31], v10, v1, v[12:13]
	v_add_u32_e32 v20, 0x1fd, v17
	s_mov_b32 s36, 0
	v_mov_b32_e32 v12, v19
	v_lshlrev_b64 v[11:12], 1, v[11:12]
	v_mov_b32_e32 v19, 0
	v_and_b32_e32 v11, -4, v11
	v_add_co_u32_e32 v11, vcc, s24, v11
	v_addc_co_u32_e32 v12, vcc, v21, v12, vcc
	v_add_u32_e32 v21, 0x1fe, v17
	v_add_u32_e32 v17, 0x200, v17
	s_mov_b32 s37, 0
	s_branch .LBB9_69
.LBB9_68:                               ;   in Loop: Header=BB9_69 Depth=3
	s_or_b64 exec, exec, s[30:31]
	s_add_i32 s37, s37, 4
	s_add_i32 s36, s36, 16
	v_add_co_u32_e32 v11, vcc, 16, v11
	s_cmpk_eq_i32 s37, 0x200
	v_addc_co_u32_e32 v12, vcc, 0, v12, vcc
	s_cbranch_scc1 .LBB9_64
.LBB9_69:                               ;   Parent Loop BB9_48 Depth=1
                                        ;     Parent Loop BB9_66 Depth=2
                                        ; =>    This Inner Loop Header: Depth=3
	v_cmp_ne_u32_e32 vcc, s37, v17
	s_add_i32 s38, s14, s37
	s_or_b64 s[30:31], s[22:23], vcc
	s_and_saveexec_b64 s[40:41], s[30:31]
	s_xor_b64 s[30:31], exec, s[40:41]
	s_cbranch_execz .LBB9_72
; %bb.70:                               ;   in Loop: Header=BB9_69 Depth=3
	s_cmp_ge_i32 s38, s15
	s_cbranch_scc1 .LBB9_72
; %bb.71:                               ;   in Loop: Header=BB9_69 Depth=3
	flat_load_dword v23, v[11:12]
	v_mov_b32_e32 v24, s36
	ds_read_b32 v24, v24
	s_waitcnt vmcnt(0) lgkmcnt(0)
	v_fmac_f32_e32 v19, v23, v24
.LBB9_72:                               ;   in Loop: Header=BB9_69 Depth=3
	s_andn2_saveexec_b64 s[30:31], s[30:31]
	s_cbranch_execz .LBB9_74
; %bb.73:                               ;   in Loop: Header=BB9_69 Depth=3
	v_mov_b32_e32 v23, s36
	ds_read_b32 v23, v23
	s_waitcnt lgkmcnt(0)
	v_add_f32_e32 v19, v19, v23
.LBB9_74:                               ;   in Loop: Header=BB9_69 Depth=3
	s_or_b64 exec, exec, s[30:31]
	v_cmp_ne_u32_e32 vcc, s37, v22
	s_or_b64 s[30:31], s[22:23], vcc
	s_and_saveexec_b64 s[40:41], s[30:31]
	s_xor_b64 s[30:31], exec, s[40:41]
	s_cbranch_execz .LBB9_77
; %bb.75:                               ;   in Loop: Header=BB9_69 Depth=3
	s_add_i32 s39, s38, 1
	s_cmp_ge_i32 s39, s15
	s_cbranch_scc1 .LBB9_77
; %bb.76:                               ;   in Loop: Header=BB9_69 Depth=3
	flat_load_dword v23, v[11:12] offset:4
	v_mov_b32_e32 v24, s36
	ds_read_b32 v24, v24 offset:4
	s_waitcnt vmcnt(0) lgkmcnt(0)
	v_fmac_f32_e32 v19, v23, v24
.LBB9_77:                               ;   in Loop: Header=BB9_69 Depth=3
	s_andn2_saveexec_b64 s[30:31], s[30:31]
	s_cbranch_execz .LBB9_79
; %bb.78:                               ;   in Loop: Header=BB9_69 Depth=3
	v_mov_b32_e32 v23, s36
	ds_read_b32 v23, v23 offset:4
	s_waitcnt lgkmcnt(0)
	v_add_f32_e32 v19, v19, v23
.LBB9_79:                               ;   in Loop: Header=BB9_69 Depth=3
	s_or_b64 exec, exec, s[30:31]
	v_cmp_ne_u32_e32 vcc, s37, v21
	s_or_b64 s[30:31], s[22:23], vcc
	s_and_saveexec_b64 s[40:41], s[30:31]
	s_xor_b64 s[30:31], exec, s[40:41]
	s_cbranch_execz .LBB9_82
; %bb.80:                               ;   in Loop: Header=BB9_69 Depth=3
	s_add_i32 s39, s38, 2
	s_cmp_ge_i32 s39, s15
	s_cbranch_scc1 .LBB9_82
; %bb.81:                               ;   in Loop: Header=BB9_69 Depth=3
	flat_load_dword v23, v[11:12] offset:8
	v_mov_b32_e32 v24, s36
	ds_read_b32 v24, v24 offset:8
	s_waitcnt vmcnt(0) lgkmcnt(0)
	v_fmac_f32_e32 v19, v23, v24
.LBB9_82:                               ;   in Loop: Header=BB9_69 Depth=3
	s_andn2_saveexec_b64 s[30:31], s[30:31]
	s_cbranch_execz .LBB9_84
; %bb.83:                               ;   in Loop: Header=BB9_69 Depth=3
	v_mov_b32_e32 v23, s36
	ds_read_b32 v23, v23 offset:8
	s_waitcnt lgkmcnt(0)
	v_add_f32_e32 v19, v19, v23
.LBB9_84:                               ;   in Loop: Header=BB9_69 Depth=3
	s_or_b64 exec, exec, s[30:31]
	v_cmp_ne_u32_e32 vcc, s37, v20
	s_or_b64 s[30:31], s[22:23], vcc
	s_and_saveexec_b64 s[40:41], s[30:31]
	s_xor_b64 s[30:31], exec, s[40:41]
	s_cbranch_execz .LBB9_87
; %bb.85:                               ;   in Loop: Header=BB9_69 Depth=3
	s_add_i32 s38, s38, 3
	s_cmp_ge_i32 s38, s15
	s_cbranch_scc1 .LBB9_87
; %bb.86:                               ;   in Loop: Header=BB9_69 Depth=3
	flat_load_dword v23, v[11:12] offset:12
	v_mov_b32_e32 v24, s36
	ds_read_b32 v24, v24 offset:12
	s_waitcnt vmcnt(0) lgkmcnt(0)
	v_fmac_f32_e32 v19, v23, v24
.LBB9_87:                               ;   in Loop: Header=BB9_69 Depth=3
	s_andn2_saveexec_b64 s[30:31], s[30:31]
	s_cbranch_execz .LBB9_68
; %bb.88:                               ;   in Loop: Header=BB9_69 Depth=3
	v_mov_b32_e32 v23, s36
	ds_read_b32 v23, v23 offset:12
	s_waitcnt lgkmcnt(0)
	v_add_f32_e32 v19, v19, v23
	s_branch .LBB9_68
.LBB9_89:                               ;   in Loop: Header=BB9_48 Depth=1
	s_or_b64 exec, exec, s[4:5]
.LBB9_90:                               ;   in Loop: Header=BB9_48 Depth=1
	s_and_saveexec_b64 s[4:5], s[0:1]
	s_cbranch_execz .LBB9_47
; %bb.91:                               ;   in Loop: Header=BB9_48 Depth=1
	v_mad_u64_u32 v[9:10], s[0:1], s10, v16, 0
	v_mov_b32_e32 v1, v10
	v_mad_u64_u32 v[10:11], s[0:1], s11, v16, v[1:2]
	ds_read_b32 v1, v13
	v_mov_b32_e32 v11, s56
	v_lshlrev_b64 v[9:10], 2, v[9:10]
	v_add_co_u32_e32 v9, vcc, s33, v9
	v_addc_co_u32_e32 v10, vcc, v11, v10, vcc
	s_waitcnt lgkmcnt(0)
	flat_store_dword v[9:10], v1
	s_branch .LBB9_47
.LBB9_92:
	s_mov_b64 s[0:1], 0
.LBB9_93:
	s_andn2_b64 vcc, exec, s[0:1]
	s_cbranch_vccnz .LBB9_180
; %bb.94:
	s_mov_b64 s[0:1], -1
	s_and_b64 vcc, exec, s[20:21]
	s_cbranch_vccz .LBB9_134
; %bb.95:
	s_andn2_b64 vcc, exec, s[8:9]
	s_cbranch_vccnz .LBB9_133
; %bb.96:
	s_lshl_b32 s20, s15, 1
	s_or_b32 s14, s20, 1
	s_ashr_i32 s21, s20, 31
	s_add_u32 s57, s16, s18
	s_addc_u32 s58, s17, s19
	s_lshl_b64 s[0:1], s[20:21], 9
	s_add_u32 s30, s0, 0xfffbfe00
	s_addc_u32 s31, s1, -1
	s_lshl_b64 s[2:3], s[20:21], 1
	s_add_u32 s16, s2, -6
	v_lshlrev_b32_e32 v16, 2, v0
	s_addc_u32 s17, s3, -1
	v_mov_b32_e32 v3, s58
	v_add_co_u32_e32 v2, vcc, s57, v16
	s_add_u32 s28, s0, 0xfffc0200
	v_addc_co_u32_e32 v3, vcc, 0, v3, vcc
	s_addc_u32 s29, s1, -1
	v_add_co_u32_e32 v4, vcc, -4, v2
	s_add_u32 s18, s2, -2
	v_mov_b32_e32 v1, 0
	v_addc_co_u32_e32 v5, vcc, -1, v3, vcc
	s_addc_u32 s19, s3, -1
	v_or_b32_e32 v17, 0x200, v0
	s_mov_b64 s[22:23], -1
	s_mov_b64 s[24:25], 0
	v_mov_b32_e32 v18, s7
	s_mov_b64 s[26:27], 0
	s_mov_b64 s[34:35], 0
	s_branch .LBB9_98
.LBB9_97:                               ;   in Loop: Header=BB9_98 Depth=1
	s_or_b64 exec, exec, s[34:35]
	s_add_u32 s0, s30, 0xfff80000
	s_addc_u32 s1, s31, -1
	s_add_u32 s20, s20, s30
	s_addc_u32 s21, s21, s31
	s_add_u32 s16, s16, 0xfffff800
	s_addc_u32 s17, s17, -1
	s_add_u32 s30, s28, 0xfff80000
	s_addc_u32 s31, s29, -1
	s_add_u32 s24, s24, s28
	s_addc_u32 s25, s25, s29
	s_add_u32 s18, s18, 0xfffff800
	s_addc_u32 s19, s19, -1
	s_add_u32 s22, s22, 0xfffffe00
	s_addc_u32 s23, s23, -1
	s_add_u32 s26, s26, 0xfffffe00
	v_add_u32_e32 v17, 0x200, v17
	s_addc_u32 s27, s27, -1
	s_and_b64 vcc, exec, s[4:5]
	s_mov_b64 s[28:29], s[30:31]
	s_mov_b64 s[30:31], s[0:1]
	;; [unrolled: 1-line block ×3, first 2 shown]
	s_waitcnt vmcnt(0) lgkmcnt(0)
	s_barrier
	s_cbranch_vccnz .LBB9_133
.LBB9_98:                               ; =>This Loop Header: Depth=1
                                        ;     Child Loop BB9_102 Depth 2
                                        ;     Child Loop BB9_116 Depth 2
                                        ;       Child Loop BB9_118 Depth 3
	v_add_u32_e32 v19, s34, v0
	v_cmp_le_i32_e32 vcc, s15, v19
	v_cmp_gt_i32_e64 s[0:1], s15, v19
	s_and_saveexec_b64 s[4:5], s[0:1]
	s_cbranch_execz .LBB9_100
; %bb.99:                               ;   in Loop: Header=BB9_98 Depth=1
	v_mad_u64_u32 v[6:7], s[2:3], s10, v19, 0
	v_mad_u64_u32 v[7:8], s[2:3], s11, v19, v[7:8]
	v_mov_b32_e32 v8, s56
	v_lshlrev_b64 v[6:7], 2, v[6:7]
	v_add_co_u32_e64 v6, s[2:3], s33, v6
	v_addc_co_u32_e64 v7, s[2:3], v8, v7, s[2:3]
	flat_load_dword v6, v[6:7]
	s_waitcnt vmcnt(0) lgkmcnt(0)
	ds_write_b32 v16, v6
.LBB9_100:                              ;   in Loop: Header=BB9_98 Depth=1
	s_or_b64 exec, exec, s[4:5]
	v_or_b32_e32 v9, s34, v0
	v_sub_u32_e32 v8, s14, v9
	v_mad_u64_u32 v[6:7], s[2:3], v8, v9, 0
	v_ashrrev_i32_e32 v8, 31, v8
	v_mov_b32_e32 v11, v5
	v_mad_u64_u32 v[7:8], s[2:3], v8, v9, v[7:8]
	v_cmp_le_i32_e64 s[2:3], s15, v9
	v_mov_b32_e32 v9, v3
	v_lshlrev_b64 v[6:7], 1, v[6:7]
	s_mov_b32 s48, 0
	v_and_b32_e32 v6, -4, v6
	v_add_co_u32_e64 v6, s[4:5], s6, v6
	v_addc_co_u32_e64 v7, s[4:5], v18, v7, s[4:5]
	s_mov_b64 s[44:45], 0
	s_xor_b64 s[4:5], vcc, -1
	s_mov_b64 s[36:37], s[24:25]
	s_mov_b64 s[40:41], s[18:19]
	v_mov_b32_e32 v8, v2
	s_mov_b64 s[38:39], s[20:21]
	s_mov_b64 s[42:43], s[16:17]
	v_mov_b32_e32 v10, v4
	s_waitcnt lgkmcnt(0)
	s_barrier
	s_branch .LBB9_102
.LBB9_101:                              ;   in Loop: Header=BB9_102 Depth=2
	s_or_b64 exec, exec, s[46:47]
	s_add_i32 s48, s48, 8
	s_add_u32 s46, s42, -8
	s_addc_u32 s47, s43, -1
	s_add_u32 s38, s38, s42
	s_addc_u32 s39, s39, s43
	s_add_u32 s42, s40, -8
	s_addc_u32 s43, s41, -1
	s_add_u32 s36, s36, s40
	v_add_co_u32_e32 v10, vcc, -8, v10
	s_addc_u32 s37, s37, s41
	v_addc_co_u32_e32 v11, vcc, -1, v11, vcc
	s_add_u32 s44, s49, 1
	v_add_co_u32_e32 v8, vcc, -8, v8
	s_addc_u32 s45, s45, 0
	v_addc_co_u32_e32 v9, vcc, -1, v9, vcc
	s_cmpk_eq_i32 s44, 0x200
	s_mov_b64 s[40:41], s[42:43]
	s_mov_b64 s[42:43], s[46:47]
	s_cbranch_scc1 .LBB9_112
.LBB9_102:                              ;   Parent Loop BB9_98 Depth=1
                                        ; =>  This Inner Loop Header: Depth=2
	v_cmp_ne_u32_e32 vcc, s44, v0
	s_or_b64 s[46:47], s[12:13], vcc
	s_nor_b64 s[50:51], s[46:47], s[2:3]
	s_and_saveexec_b64 s[46:47], s[50:51]
	s_cbranch_execz .LBB9_104
; %bb.103:                              ;   in Loop: Header=BB9_102 Depth=2
	flat_load_dword v12, v[6:7]
	ds_read_b32 v13, v16
	s_waitcnt vmcnt(0) lgkmcnt(0)
	v_div_scale_f32 v14, s[50:51], v12, v12, v13
	v_div_scale_f32 v15, vcc, v13, v12, v13
	v_rcp_f32_e32 v20, v14
	v_fma_f32 v21, -v14, v20, 1.0
	v_fmac_f32_e32 v20, v21, v20
	v_mul_f32_e32 v21, v15, v20
	v_fma_f32 v22, -v14, v21, v15
	v_fmac_f32_e32 v21, v22, v20
	v_fma_f32 v14, -v14, v21, v15
	v_div_fmas_f32 v14, v14, v20, v21
	v_div_fixup_f32 v12, v14, v12, v13
	ds_write_b32 v16, v12
.LBB9_104:                              ;   in Loop: Header=BB9_102 Depth=2
	s_or_b64 exec, exec, s[46:47]
	v_cmp_lt_u32_e32 vcc, s44, v0
	s_waitcnt lgkmcnt(0)
	s_barrier
	s_and_saveexec_b64 s[46:47], vcc
	s_cbranch_execz .LBB9_107
; %bb.105:                              ;   in Loop: Header=BB9_102 Depth=2
	s_add_i32 s49, s34, s44
	s_cmp_lt_i32 s49, s15
	s_cselect_b64 s[50:51], -1, 0
	s_and_b64 s[50:51], s[4:5], s[50:51]
	s_and_b64 exec, exec, s[50:51]
	s_cbranch_execz .LBB9_107
; %bb.106:                              ;   in Loop: Header=BB9_102 Depth=2
	s_lshl_b64 s[50:51], s[36:37], 1
	s_and_b32 s49, s50, -4
	v_mov_b32_e32 v13, s51
	v_add_co_u32_e32 v12, vcc, s49, v8
	v_addc_co_u32_e32 v13, vcc, v9, v13, vcc
	flat_load_dword v12, v[12:13]
	v_mov_b32_e32 v13, s48
	ds_read_b32 v13, v13
	ds_read_b32 v14, v16
	s_waitcnt vmcnt(0) lgkmcnt(0)
	v_fma_f32 v12, -v12, v13, v14
	ds_write_b32 v16, v12
.LBB9_107:                              ;   in Loop: Header=BB9_102 Depth=2
	s_or_b64 exec, exec, s[46:47]
	s_add_u32 s49, s44, 1
	v_cmp_ne_u32_e32 vcc, s49, v0
	s_addc_u32 s45, s45, 0
	s_or_b64 s[46:47], s[12:13], vcc
	s_nor_b64 s[50:51], s[46:47], s[2:3]
	s_and_saveexec_b64 s[46:47], s[50:51]
	s_cbranch_execz .LBB9_109
; %bb.108:                              ;   in Loop: Header=BB9_102 Depth=2
	flat_load_dword v12, v[6:7]
	ds_read_b32 v13, v16
	s_waitcnt vmcnt(0) lgkmcnt(0)
	v_div_scale_f32 v14, s[50:51], v12, v12, v13
	v_div_scale_f32 v15, vcc, v13, v12, v13
	v_rcp_f32_e32 v20, v14
	v_fma_f32 v21, -v14, v20, 1.0
	v_fmac_f32_e32 v20, v21, v20
	v_mul_f32_e32 v21, v15, v20
	v_fma_f32 v22, -v14, v21, v15
	v_fmac_f32_e32 v21, v22, v20
	v_fma_f32 v14, -v14, v21, v15
	v_div_fmas_f32 v14, v14, v20, v21
	v_div_fixup_f32 v12, v14, v12, v13
	ds_write_b32 v16, v12
.LBB9_109:                              ;   in Loop: Header=BB9_102 Depth=2
	s_or_b64 exec, exec, s[46:47]
	v_cmp_lt_u32_e32 vcc, s49, v0
	s_waitcnt lgkmcnt(0)
	s_barrier
	s_and_saveexec_b64 s[46:47], vcc
	s_cbranch_execz .LBB9_101
; %bb.110:                              ;   in Loop: Header=BB9_102 Depth=2
	s_add_i32 s44, s34, s44
	s_add_i32 s44, s44, 1
	s_cmp_lt_i32 s44, s15
	s_cselect_b64 s[50:51], -1, 0
	s_and_b64 s[50:51], s[4:5], s[50:51]
	s_and_b64 exec, exec, s[50:51]
	s_cbranch_execz .LBB9_101
; %bb.111:                              ;   in Loop: Header=BB9_102 Depth=2
	s_lshl_b64 s[50:51], s[38:39], 1
	s_and_b32 s44, s50, -4
	v_mov_b32_e32 v13, s51
	v_add_co_u32_e32 v12, vcc, s44, v10
	v_addc_co_u32_e32 v13, vcc, v11, v13, vcc
	flat_load_dword v12, v[12:13]
	v_mov_b32_e32 v13, s48
	ds_read_b32 v13, v13 offset:4
	ds_read_b32 v14, v16
	s_waitcnt vmcnt(0) lgkmcnt(0)
	v_fma_f32 v12, -v12, v13, v14
	ds_write_b32 v16, v12
	s_branch .LBB9_101
.LBB9_112:                              ;   in Loop: Header=BB9_98 Depth=1
	s_add_u32 s2, s34, 0x200
	s_addc_u32 s3, s35, 0
	s_cmp_ge_i32 s2, s15
	s_cselect_b64 s[4:5], -1, 0
	s_and_b64 vcc, exec, s[4:5]
	s_waitcnt lgkmcnt(0)
	s_barrier
	s_cbranch_vccnz .LBB9_131
; %bb.113:                              ;   in Loop: Header=BB9_98 Depth=1
	v_ashrrev_i32_e32 v9, 31, v17
	v_mov_b32_e32 v7, s23
	v_add_co_u32_e32 v6, vcc, s22, v17
	v_addc_co_u32_e32 v7, vcc, v7, v9, vcc
	v_lshlrev_b64 v[6:7], 2, v[6:7]
	v_mov_b32_e32 v10, s58
	v_add_co_u32_e32 v6, vcc, s57, v6
	v_addc_co_u32_e32 v7, vcc, v10, v7, vcc
	v_mov_b32_e32 v11, s27
	v_add_co_u32_e32 v8, vcc, s26, v17
	v_addc_co_u32_e32 v9, vcc, v11, v9, vcc
	v_lshlrev_b64 v[8:9], 2, v[8:9]
	s_mov_b32 s35, s2
	v_add_co_u32_e32 v8, vcc, s57, v8
	v_addc_co_u32_e32 v9, vcc, v10, v9, vcc
	v_mov_b32_e32 v11, v1
	s_mov_b64 s[36:37], 0
	v_mov_b32_e32 v10, v0
                                        ; implicit-def: $sgpr38_sgpr39
	s_branch .LBB9_116
.LBB9_114:                              ;   in Loop: Header=BB9_116 Depth=2
	v_mad_u64_u32 v[12:13], s[42:43], s10, v21, 0
	s_addk_i32 s35, 0x200
	s_cmp_ge_i32 s35, s15
	v_mad_u64_u32 v[13:14], s[42:43], s11, v21, v[13:14]
	v_mov_b32_e32 v14, s56
	s_cselect_b64 s[42:43], -1, 0
	v_lshlrev_b64 v[12:13], 2, v[12:13]
	s_andn2_b64 s[38:39], s[38:39], exec
	v_add_co_u32_e32 v12, vcc, s33, v12
	v_addc_co_u32_e32 v13, vcc, v14, v13, vcc
	flat_load_dword v14, v[12:13]
	v_add_co_u32_e32 v6, vcc, 0x800, v6
	v_addc_co_u32_e32 v7, vcc, 0, v7, vcc
	v_add_co_u32_e32 v8, vcc, 0x800, v8
	s_and_b64 s[42:43], s[42:43], exec
	v_addc_co_u32_e32 v9, vcc, 0, v9, vcc
	s_or_b64 s[38:39], s[38:39], s[42:43]
	s_waitcnt vmcnt(0) lgkmcnt(0)
	v_sub_f32_e32 v14, v14, v20
	flat_store_dword v[12:13], v14
.LBB9_115:                              ;   in Loop: Header=BB9_116 Depth=2
	s_or_b64 exec, exec, s[40:41]
	s_and_b64 s[40:41], exec, s[38:39]
	s_or_b64 s[36:37], s[40:41], s[36:37]
	s_andn2_b64 exec, exec, s[36:37]
	s_cbranch_execz .LBB9_130
.LBB9_116:                              ;   Parent Loop BB9_98 Depth=1
                                        ; =>  This Loop Header: Depth=2
                                        ;       Child Loop BB9_118 Depth 3
	v_add_u32_e32 v21, s35, v0
	v_cmp_gt_i32_e32 vcc, s15, v21
	s_or_b64 s[38:39], s[38:39], exec
	s_and_saveexec_b64 s[40:41], vcc
	s_cbranch_execz .LBB9_115
; %bb.117:                              ;   in Loop: Header=BB9_116 Depth=2
	v_add_co_u32_e32 v22, vcc, 0x1ff, v10
	v_add_co_u32_e32 v10, vcc, 0x200, v10
	v_mov_b32_e32 v13, v9
	v_mov_b32_e32 v15, v7
	v_addc_co_u32_e32 v11, vcc, 0, v11, vcc
	v_mov_b32_e32 v20, 0
	s_mov_b64 s[42:43], 0
	s_mov_b32 s59, 0
	s_mov_b64 s[44:45], s[24:25]
	s_mov_b64 s[48:49], s[18:19]
	v_mov_b32_e32 v12, v8
	s_mov_b64 s[46:47], s[20:21]
	s_mov_b64 s[50:51], s[16:17]
	v_mov_b32_e32 v14, v6
.LBB9_118:                              ;   Parent Loop BB9_98 Depth=1
                                        ;     Parent Loop BB9_116 Depth=2
                                        ; =>    This Inner Loop Header: Depth=3
	v_cmp_ne_u32_e32 vcc, s42, v10
	s_xor_b64 s[52:53], s[12:13], -1
	s_add_u32 s60, s34, s42
	s_or_b64 s[54:55], s[52:53], vcc
	s_and_saveexec_b64 s[62:63], s[54:55]
	s_xor_b64 s[54:55], exec, s[62:63]
	s_cbranch_execz .LBB9_121
; %bb.119:                              ;   in Loop: Header=BB9_118 Depth=3
	s_cmp_ge_i32 s60, s15
	s_cbranch_scc1 .LBB9_121
; %bb.120:                              ;   in Loop: Header=BB9_118 Depth=3
	s_lshl_b64 s[62:63], s[44:45], 1
	s_and_b32 s61, s62, -4
	v_mov_b32_e32 v24, s63
	v_add_co_u32_e32 v23, vcc, s61, v12
	v_addc_co_u32_e32 v24, vcc, v13, v24, vcc
	flat_load_dword v23, v[23:24]
	v_mov_b32_e32 v24, s59
	ds_read_b32 v24, v24
	s_waitcnt vmcnt(0) lgkmcnt(0)
	v_fmac_f32_e32 v20, v23, v24
.LBB9_121:                              ;   in Loop: Header=BB9_118 Depth=3
	s_andn2_saveexec_b64 s[54:55], s[54:55]
	s_cbranch_execz .LBB9_123
; %bb.122:                              ;   in Loop: Header=BB9_118 Depth=3
	v_mov_b32_e32 v23, s59
	ds_read_b32 v23, v23
	s_waitcnt lgkmcnt(0)
	v_add_f32_e32 v20, v20, v23
.LBB9_123:                              ;   in Loop: Header=BB9_118 Depth=3
	s_or_b64 exec, exec, s[54:55]
	v_cmp_ne_u32_e32 vcc, s42, v22
	s_or_b64 s[52:53], s[52:53], vcc
	s_and_saveexec_b64 s[54:55], s[52:53]
	s_xor_b64 s[52:53], exec, s[54:55]
	s_cbranch_execz .LBB9_126
; %bb.124:                              ;   in Loop: Header=BB9_118 Depth=3
	s_add_i32 s60, s60, 1
	s_cmp_ge_i32 s60, s15
	s_cbranch_scc1 .LBB9_126
; %bb.125:                              ;   in Loop: Header=BB9_118 Depth=3
	s_lshl_b64 s[54:55], s[46:47], 1
	s_and_b32 s54, s54, -4
	v_mov_b32_e32 v24, s55
	v_add_co_u32_e32 v23, vcc, s54, v14
	v_addc_co_u32_e32 v24, vcc, v15, v24, vcc
	flat_load_dword v23, v[23:24]
	v_mov_b32_e32 v24, s59
	ds_read_b32 v24, v24 offset:4
	s_waitcnt vmcnt(0) lgkmcnt(0)
	v_fmac_f32_e32 v20, v23, v24
.LBB9_126:                              ;   in Loop: Header=BB9_118 Depth=3
	s_andn2_saveexec_b64 s[52:53], s[52:53]
	s_cbranch_execz .LBB9_128
; %bb.127:                              ;   in Loop: Header=BB9_118 Depth=3
	v_mov_b32_e32 v23, s59
	ds_read_b32 v23, v23 offset:4
	s_waitcnt lgkmcnt(0)
	v_add_f32_e32 v20, v20, v23
.LBB9_128:                              ;   in Loop: Header=BB9_118 Depth=3
	s_or_b64 exec, exec, s[52:53]
	s_add_u32 s42, s42, 2
	s_addc_u32 s43, s43, 0
	s_add_u32 s52, s50, -8
	s_addc_u32 s53, s51, -1
	s_add_u32 s46, s46, s50
	s_addc_u32 s47, s47, s51
	s_add_i32 s59, s59, 8
	s_add_u32 s50, s48, -8
	v_add_co_u32_e32 v14, vcc, -8, v14
	s_addc_u32 s51, s49, -1
	v_addc_co_u32_e32 v15, vcc, -1, v15, vcc
	s_add_u32 s44, s44, s48
	s_addc_u32 s45, s45, s49
	v_add_co_u32_e32 v12, vcc, -8, v12
	s_cmpk_eq_i32 s42, 0x200
	v_addc_co_u32_e32 v13, vcc, -1, v13, vcc
	s_cbranch_scc1 .LBB9_114
; %bb.129:                              ;   in Loop: Header=BB9_118 Depth=3
	s_mov_b64 s[48:49], s[50:51]
	s_mov_b64 s[50:51], s[52:53]
	s_branch .LBB9_118
.LBB9_130:                              ;   in Loop: Header=BB9_98 Depth=1
	s_or_b64 exec, exec, s[36:37]
.LBB9_131:                              ;   in Loop: Header=BB9_98 Depth=1
	s_and_saveexec_b64 s[34:35], s[0:1]
	s_cbranch_execz .LBB9_97
; %bb.132:                              ;   in Loop: Header=BB9_98 Depth=1
	v_mad_u64_u32 v[6:7], s[0:1], s10, v19, 0
	v_mov_b32_e32 v9, s56
	v_mad_u64_u32 v[7:8], s[0:1], s11, v19, v[7:8]
	ds_read_b32 v8, v16
	v_lshlrev_b64 v[6:7], 2, v[6:7]
	v_add_co_u32_e32 v6, vcc, s33, v6
	v_addc_co_u32_e32 v7, vcc, v9, v7, vcc
	s_waitcnt lgkmcnt(0)
	flat_store_dword v[6:7], v8
	s_branch .LBB9_97
.LBB9_133:
	s_mov_b64 s[0:1], 0
.LBB9_134:
	s_andn2_b64 vcc, exec, s[0:1]
	s_cbranch_vccnz .LBB9_180
; %bb.135:
	s_andn2_b64 vcc, exec, s[8:9]
	s_cbranch_vccnz .LBB9_180
; %bb.136:
	v_mov_b32_e32 v1, 0x800
	v_mov_b32_e32 v3, 0
	s_add_i32 s28, s15, 0xfffffe00
	v_lshl_or_b32 v12, v0, 2, v1
	v_add_u32_e32 v13, 0xfffffe01, v0
	s_mov_b32 s26, 0
	s_mov_b32 s27, s15
	v_mov_b32_e32 v1, v3
	v_mov_b32_e32 v14, s7
	s_xor_b64 s[4:5], s[12:13], -1
	s_branch .LBB9_138
.LBB9_137:                              ;   in Loop: Header=BB9_138 Depth=1
	s_or_b64 exec, exec, s[8:9]
	s_add_u32 s27, s27, 0xfffffe00
	s_addc_u32 s26, s26, -1
	s_and_b64 vcc, exec, s[2:3]
	s_mov_b32 s28, s29
	s_waitcnt vmcnt(0) lgkmcnt(0)
	s_barrier
	s_cbranch_vccnz .LBB9_180
.LBB9_138:                              ; =>This Loop Header: Depth=1
                                        ;     Child Loop BB9_143 Depth 2
                                        ;     Child Loop BB9_158 Depth 2
                                        ;       Child Loop BB9_161 Depth 3
	v_add_u32_e32 v4, s28, v0
	v_cmp_gt_i32_e32 vcc, 0, v4
	v_cmp_lt_i32_e64 s[0:1], -1, v4
	v_mov_b32_e32 v5, v3
	s_and_saveexec_b64 s[8:9], s[0:1]
	s_cbranch_execz .LBB9_140
; %bb.139:                              ;   in Loop: Header=BB9_138 Depth=1
	v_mad_u64_u32 v[6:7], s[2:3], s10, v4, 0
	v_mov_b32_e32 v2, v7
	v_mad_u64_u32 v[7:8], s[2:3], s11, v4, v[2:3]
	v_mov_b32_e32 v2, s56
	v_lshlrev_b64 v[6:7], 2, v[6:7]
	v_add_co_u32_e64 v6, s[2:3], s33, v6
	v_addc_co_u32_e64 v7, s[2:3], v2, v7, s[2:3]
	flat_load_dword v2, v[6:7]
	s_waitcnt vmcnt(0) lgkmcnt(0)
	ds_write_b32 v12, v2
.LBB9_140:                              ;   in Loop: Header=BB9_138 Depth=1
	s_or_b64 exec, exec, s[8:9]
	v_add_u32_e32 v2, 1, v4
	v_mad_u64_u32 v[8:9], s[2:3], v4, v2, 0
	v_lshlrev_b64 v[10:11], 2, v[4:5]
	v_ashrrev_i32_e32 v7, 31, v4
	v_mov_b32_e32 v6, v4
	v_add_co_u32_e64 v10, s[2:3], s6, v10
	v_lshlrev_b64 v[5:6], 2, v[6:7]
	v_addc_co_u32_e64 v11, s[2:3], v14, v11, s[2:3]
	v_lshlrev_b64 v[8:9], 1, v[8:9]
	v_add_co_u32_e64 v2, s[2:3], s6, v5
	v_addc_co_u32_e64 v7, s[2:3], v14, v6, s[2:3]
	v_and_b32_e32 v5, -4, v8
	v_add_co_u32_e64 v5, s[2:3], v10, v5
	v_addc_co_u32_e64 v6, s[2:3], v11, v9, s[2:3]
	s_or_b64 s[2:3], s[12:13], vcc
	s_movk_i32 s16, 0x1ff
	s_movk_i32 s17, 0xff8
	v_mov_b32_e32 v9, s27
	s_xor_b64 s[8:9], s[2:3], -1
	v_mov_b32_e32 v8, v13
	s_waitcnt lgkmcnt(0)
	s_barrier
	s_branch .LBB9_143
.LBB9_141:                              ;   in Loop: Header=BB9_143 Depth=2
	s_or_b64 exec, exec, s[14:15]
	v_mov_b32_e32 v9, v11
.LBB9_142:                              ;   in Loop: Header=BB9_143 Depth=2
	s_or_b64 exec, exec, s[2:3]
	s_add_i32 s16, s16, -2
	s_add_i32 s17, s17, -8
	s_cmp_eq_u32 s18, 0
	v_add_u32_e32 v8, 2, v8
	s_cbranch_scc1 .LBB9_154
.LBB9_143:                              ;   Parent Loop BB9_138 Depth=1
                                        ; =>  This Inner Loop Header: Depth=2
	v_cmp_eq_u32_e32 vcc, 0, v8
	s_and_b64 s[14:15], vcc, s[8:9]
	s_and_saveexec_b64 s[2:3], s[14:15]
	s_cbranch_execz .LBB9_145
; %bb.144:                              ;   in Loop: Header=BB9_143 Depth=2
	flat_load_dword v10, v[5:6]
	ds_read_b32 v11, v12
	s_waitcnt vmcnt(0) lgkmcnt(0)
	v_div_scale_f32 v15, s[14:15], v10, v10, v11
	v_div_scale_f32 v16, vcc, v11, v10, v11
	v_rcp_f32_e32 v17, v15
	v_fma_f32 v18, -v15, v17, 1.0
	v_fmac_f32_e32 v17, v18, v17
	v_mul_f32_e32 v18, v16, v17
	v_fma_f32 v19, -v15, v18, v16
	v_fmac_f32_e32 v18, v19, v17
	v_fma_f32 v15, -v15, v18, v16
	v_div_fmas_f32 v15, v15, v17, v18
	v_div_fixup_f32 v10, v15, v10, v11
	ds_write_b32 v12, v10
.LBB9_145:                              ;   in Loop: Header=BB9_143 Depth=2
	s_or_b64 exec, exec, s[2:3]
	v_add_u32_e32 v10, -1, v9
	v_or_b32_e32 v11, v4, v10
	v_cmp_gt_u32_e32 vcc, s16, v0
	v_cmp_lt_i32_e64 s[2:3], -1, v11
	s_and_b64 s[14:15], vcc, s[2:3]
	s_waitcnt lgkmcnt(0)
	s_barrier
	s_and_saveexec_b64 s[2:3], s[14:15]
	s_cbranch_execz .LBB9_147
; %bb.146:                              ;   in Loop: Header=BB9_143 Depth=2
	v_mad_u64_u32 v[15:16], s[14:15], v9, v10, 0
	v_lshlrev_b64 v[15:16], 1, v[15:16]
	v_and_b32_e32 v11, -4, v15
	v_add_co_u32_e32 v15, vcc, v2, v11
	v_addc_co_u32_e32 v16, vcc, v7, v16, vcc
	flat_load_dword v11, v[15:16]
	v_mov_b32_e32 v15, s17
	ds_read_b32 v15, v15 offset:4
	ds_read_b32 v16, v12
	s_waitcnt vmcnt(0) lgkmcnt(0)
	v_fma_f32 v11, -v11, v15, v16
	ds_write_b32 v12, v11
.LBB9_147:                              ;   in Loop: Header=BB9_143 Depth=2
	s_or_b64 exec, exec, s[2:3]
	s_add_i32 s18, s16, -1
	v_cmp_eq_u32_e32 vcc, s18, v0
	s_and_b64 s[14:15], vcc, s[8:9]
	s_and_saveexec_b64 s[2:3], s[14:15]
	s_cbranch_execz .LBB9_149
; %bb.148:                              ;   in Loop: Header=BB9_143 Depth=2
	flat_load_dword v11, v[5:6]
	ds_read_b32 v15, v12
	s_waitcnt vmcnt(0) lgkmcnt(0)
	v_div_scale_f32 v16, s[14:15], v11, v11, v15
	v_div_scale_f32 v17, vcc, v15, v11, v15
	v_rcp_f32_e32 v18, v16
	v_fma_f32 v19, -v16, v18, 1.0
	v_fmac_f32_e32 v18, v19, v18
	v_mul_f32_e32 v19, v17, v18
	v_fma_f32 v20, -v16, v19, v17
	v_fmac_f32_e32 v19, v20, v18
	v_fma_f32 v16, -v16, v19, v17
	v_div_fmas_f32 v16, v16, v18, v19
	v_div_fixup_f32 v11, v16, v11, v15
	ds_write_b32 v12, v11
.LBB9_149:                              ;   in Loop: Header=BB9_143 Depth=2
	s_or_b64 exec, exec, s[2:3]
	v_cmp_le_u32_e32 vcc, s18, v0
	v_add_u32_e32 v11, -2, v9
	s_waitcnt lgkmcnt(0)
	s_barrier
	s_and_saveexec_b64 s[2:3], vcc
	s_xor_b64 s[2:3], exec, s[2:3]
; %bb.150:                              ;   in Loop: Header=BB9_143 Depth=2
	v_add_u32_e32 v9, -2, v9
                                        ; implicit-def: $vgpr11
                                        ; implicit-def: $vgpr10
; %bb.151:                              ;   in Loop: Header=BB9_143 Depth=2
	s_andn2_saveexec_b64 s[2:3], s[2:3]
	s_cbranch_execz .LBB9_142
; %bb.152:                              ;   in Loop: Header=BB9_143 Depth=2
	v_or_b32_e32 v9, v4, v11
	v_cmp_lt_i32_e32 vcc, -1, v9
	s_and_saveexec_b64 s[14:15], vcc
	s_cbranch_execz .LBB9_141
; %bb.153:                              ;   in Loop: Header=BB9_143 Depth=2
	v_mad_u64_u32 v[9:10], s[20:21], v10, v11, 0
	v_lshlrev_b64 v[9:10], 1, v[9:10]
	v_and_b32_e32 v9, -4, v9
	v_add_co_u32_e32 v9, vcc, v2, v9
	v_addc_co_u32_e32 v10, vcc, v7, v10, vcc
	flat_load_dword v9, v[9:10]
	v_mov_b32_e32 v10, s17
	ds_read_b32 v10, v10
	ds_read_b32 v15, v12
	s_waitcnt vmcnt(0) lgkmcnt(0)
	v_fma_f32 v9, -v9, v10, v15
	ds_write_b32 v12, v9
	s_branch .LBB9_141
.LBB9_154:                              ;   in Loop: Header=BB9_138 Depth=1
	s_add_i32 s29, s28, 0xfffffe00
	s_cmp_lt_i32 s28, 1
	s_cselect_b64 s[2:3], -1, 0
	s_and_b64 vcc, exec, s[2:3]
	s_waitcnt lgkmcnt(0)
	s_barrier
	s_cbranch_vccnz .LBB9_178
; %bb.155:                              ;   in Loop: Header=BB9_138 Depth=1
	v_mov_b32_e32 v6, v1
	s_mov_b64 s[8:9], 0
	v_mov_b32_e32 v5, v0
	s_mov_b32 s30, s29
                                        ; implicit-def: $sgpr14_sgpr15
	s_branch .LBB9_158
.LBB9_156:                              ;   in Loop: Header=BB9_158 Depth=2
	v_mad_u64_u32 v[7:8], s[18:19], s10, v2, 0
	s_add_i32 s20, s30, 0xfffffe00
	s_cmp_lt_i32 s30, 1
	v_mad_u64_u32 v[8:9], s[18:19], s11, v2, v[8:9]
	v_mov_b32_e32 v2, s56
	s_cselect_b64 s[18:19], -1, 0
	v_lshlrev_b64 v[7:8], 2, v[7:8]
	s_andn2_b64 s[14:15], s[14:15], exec
	v_add_co_u32_e32 v7, vcc, s33, v7
	v_addc_co_u32_e32 v8, vcc, v2, v8, vcc
	flat_load_dword v2, v[7:8]
	v_add_co_u32_e32 v5, vcc, 0xfffffe00, v5
	s_and_b64 s[18:19], s[18:19], exec
	v_addc_co_u32_e32 v6, vcc, -1, v6, vcc
	s_or_b64 s[14:15], s[14:15], s[18:19]
	s_mov_b32 s30, s20
	s_waitcnt vmcnt(0) lgkmcnt(0)
	v_sub_f32_e32 v2, v2, v15
	flat_store_dword v[7:8], v2
.LBB9_157:                              ;   in Loop: Header=BB9_158 Depth=2
	s_or_b64 exec, exec, s[16:17]
	s_and_b64 s[16:17], exec, s[14:15]
	s_or_b64 s[8:9], s[16:17], s[8:9]
	s_andn2_b64 exec, exec, s[8:9]
	s_cbranch_execz .LBB9_177
.LBB9_158:                              ;   Parent Loop BB9_138 Depth=1
                                        ; =>  This Loop Header: Depth=2
                                        ;       Child Loop BB9_161 Depth 3
	v_add_u32_e32 v2, s30, v0
	v_cmp_lt_i32_e32 vcc, -1, v2
	s_or_b64 s[14:15], s[14:15], exec
	s_and_saveexec_b64 s[16:17], vcc
	s_cbranch_execz .LBB9_157
; %bb.159:                              ;   in Loop: Header=BB9_158 Depth=2
	v_lshlrev_b64 v[7:8], 2, v[2:3]
	v_mov_b32_e32 v9, s7
	v_add_co_u32_e32 v16, vcc, s6, v7
	v_addc_co_u32_e32 v17, vcc, v9, v8, vcc
	v_add_co_u32_e32 v18, vcc, 0xfffffdfd, v5
	v_add_co_u32_e32 v19, vcc, 0xfffffdfe, v5
	v_add_co_u32_e32 v20, vcc, 0xfffffdff, v5
	v_add_co_u32_e32 v21, vcc, 0xfffffe00, v5
	v_mov_b32_e32 v15, 0
	s_movk_i32 s31, 0x800
	s_mov_b64 s[18:19], 0
	s_branch .LBB9_161
.LBB9_160:                              ;   in Loop: Header=BB9_161 Depth=3
	s_or_b64 exec, exec, s[20:21]
	s_waitcnt lgkmcnt(0)
	v_add_f32_e32 v7, v15, v22
	s_add_i32 s31, s31, 16
	v_add_f32_e32 v7, v7, v11
	s_add_u32 s18, s18, 4
	v_add_f32_e32 v7, v7, v23
	s_addc_u32 s19, s19, 0
	s_cmpk_eq_i32 s18, 0x200
	v_add_f32_e32 v15, v7, v8
	s_cbranch_scc1 .LBB9_156
.LBB9_161:                              ;   Parent Loop BB9_138 Depth=1
                                        ;     Parent Loop BB9_158 Depth=2
                                        ; =>    This Inner Loop Header: Depth=3
	v_cmp_ne_u32_e32 vcc, s18, v21
	s_or_b64 s[24:25], s[4:5], vcc
                                        ; implicit-def: $vgpr22
                                        ; implicit-def: $sgpr20_sgpr21
                                        ; implicit-def: $sgpr22_sgpr23
	s_and_saveexec_b64 s[34:35], s[24:25]
	s_xor_b64 s[24:25], exec, s[34:35]
	s_cbranch_execz .LBB9_163
; %bb.162:                              ;   in Loop: Header=BB9_161 Depth=3
	s_add_u32 s20, s27, s18
	s_addc_u32 s21, s26, s19
	s_add_u32 s22, s20, 0xfffffe01
	s_addc_u32 s23, s21, 0
	;; [unrolled: 2-line block ×3, first 2 shown]
	s_mul_i32 s35, s22, s35
	s_mul_hi_u32 s36, s22, s34
	s_add_i32 s35, s36, s35
	s_mul_i32 s34, s22, s34
	s_lshl_b64 s[34:35], s[34:35], 1
	s_and_b32 s34, s34, -4
	v_mov_b32_e32 v8, s35
	v_add_co_u32_e32 v7, vcc, s34, v16
	v_addc_co_u32_e32 v8, vcc, v17, v8, vcc
	flat_load_dword v7, v[7:8]
	v_mov_b32_e32 v8, s31
	ds_read_b32 v8, v8
	s_waitcnt vmcnt(0) lgkmcnt(0)
	v_mul_f32_e32 v22, v7, v8
.LBB9_163:                              ;   in Loop: Header=BB9_161 Depth=3
	s_or_saveexec_b64 s[24:25], s[24:25]
	v_mov_b32_e32 v10, s22
	v_mov_b32_e32 v7, s20
	;; [unrolled: 1-line block ×4, first 2 shown]
	s_xor_b64 exec, exec, s[24:25]
	s_cbranch_execz .LBB9_165
; %bb.164:                              ;   in Loop: Header=BB9_161 Depth=3
	v_mov_b32_e32 v7, s31
	ds_read_b32 v22, v7
	s_add_u32 s20, s27, s18
	s_addc_u32 s21, s26, s19
	s_add_u32 s22, s20, 0xfffffe01
	s_addc_u32 s23, s21, 0
	v_mov_b32_e32 v10, s22
	v_mov_b32_e32 v7, s20
	;; [unrolled: 1-line block ×4, first 2 shown]
.LBB9_165:                              ;   in Loop: Header=BB9_161 Depth=3
	s_or_b64 exec, exec, s[24:25]
	v_cmp_ne_u32_e32 vcc, s18, v20
	s_or_b64 s[20:21], s[4:5], vcc
                                        ; implicit-def: $vgpr11
                                        ; implicit-def: $vgpr8_vgpr9
	s_and_saveexec_b64 s[22:23], s[20:21]
	s_xor_b64 s[20:21], exec, s[22:23]
	s_cbranch_execz .LBB9_167
; %bb.166:                              ;   in Loop: Header=BB9_161 Depth=3
	v_add_co_u32_e32 v8, vcc, 0xfffffe02, v7
	v_mad_u64_u32 v[9:10], s[22:23], v8, v10, 0
	v_lshlrev_b64 v[9:10], 1, v[9:10]
	v_and_b32_e32 v9, -4, v9
	v_add_co_u32_e32 v9, vcc, v16, v9
	v_addc_co_u32_e32 v10, vcc, v17, v10, vcc
	flat_load_dword v9, v[9:10]
	v_mov_b32_e32 v10, s31
	ds_read_b32 v10, v10 offset:4
	s_waitcnt vmcnt(0) lgkmcnt(0)
	v_mul_f32_e32 v11, v9, v10
.LBB9_167:                              ;   in Loop: Header=BB9_161 Depth=3
	s_andn2_saveexec_b64 s[20:21], s[20:21]
; %bb.168:                              ;   in Loop: Header=BB9_161 Depth=3
	v_mov_b32_e32 v8, s31
	ds_read_b32 v11, v8 offset:4
	v_add_co_u32_e32 v8, vcc, 0xfffffe02, v7
; %bb.169:                              ;   in Loop: Header=BB9_161 Depth=3
	s_or_b64 exec, exec, s[20:21]
	v_cmp_ne_u32_e32 vcc, s18, v19
	s_or_b64 s[20:21], s[4:5], vcc
                                        ; implicit-def: $vgpr23
                                        ; implicit-def: $vgpr9_vgpr10
	s_and_saveexec_b64 s[22:23], s[20:21]
	s_xor_b64 s[20:21], exec, s[22:23]
	s_cbranch_execz .LBB9_171
; %bb.170:                              ;   in Loop: Header=BB9_161 Depth=3
	v_add_co_u32_e32 v9, vcc, 0xfffffe03, v7
	v_mad_u64_u32 v[23:24], s[22:23], v9, v8, 0
	v_mov_b32_e32 v10, s31
	ds_read_b32 v10, v10 offset:8
	v_lshlrev_b64 v[23:24], 1, v[23:24]
	v_and_b32_e32 v8, -4, v23
	v_add_co_u32_e32 v23, vcc, v16, v8
	v_addc_co_u32_e32 v24, vcc, v17, v24, vcc
	flat_load_dword v8, v[23:24]
	s_waitcnt vmcnt(0) lgkmcnt(0)
	v_mul_f32_e32 v23, v8, v10
.LBB9_171:                              ;   in Loop: Header=BB9_161 Depth=3
	s_andn2_saveexec_b64 s[20:21], s[20:21]
; %bb.172:                              ;   in Loop: Header=BB9_161 Depth=3
	v_mov_b32_e32 v8, s31
	ds_read_b32 v23, v8 offset:8
	v_add_co_u32_e32 v9, vcc, 0xfffffe03, v7
; %bb.173:                              ;   in Loop: Header=BB9_161 Depth=3
	s_or_b64 exec, exec, s[20:21]
	v_cmp_ne_u32_e32 vcc, s18, v18
	s_or_b64 s[20:21], s[4:5], vcc
                                        ; implicit-def: $vgpr8
	s_and_saveexec_b64 s[22:23], s[20:21]
	s_xor_b64 s[20:21], exec, s[22:23]
	s_cbranch_execz .LBB9_175
; %bb.174:                              ;   in Loop: Header=BB9_161 Depth=3
	v_add_u32_e32 v7, 0xfffffe04, v7
	v_mad_u64_u32 v[7:8], s[22:23], v7, v9, 0
	v_lshlrev_b64 v[7:8], 1, v[7:8]
	v_and_b32_e32 v7, -4, v7
	v_add_co_u32_e32 v7, vcc, v16, v7
	v_addc_co_u32_e32 v8, vcc, v17, v8, vcc
	flat_load_dword v7, v[7:8]
	v_mov_b32_e32 v8, s31
	ds_read_b32 v8, v8 offset:12
	s_waitcnt vmcnt(0) lgkmcnt(0)
	v_mul_f32_e32 v8, v7, v8
.LBB9_175:                              ;   in Loop: Header=BB9_161 Depth=3
	s_andn2_saveexec_b64 s[20:21], s[20:21]
	s_cbranch_execz .LBB9_160
; %bb.176:                              ;   in Loop: Header=BB9_161 Depth=3
	v_mov_b32_e32 v7, s31
	ds_read_b32 v8, v7 offset:12
	s_branch .LBB9_160
.LBB9_177:                              ;   in Loop: Header=BB9_138 Depth=1
	s_or_b64 exec, exec, s[8:9]
.LBB9_178:                              ;   in Loop: Header=BB9_138 Depth=1
	s_and_saveexec_b64 s[8:9], s[0:1]
	s_cbranch_execz .LBB9_137
; %bb.179:                              ;   in Loop: Header=BB9_138 Depth=1
	v_mad_u64_u32 v[5:6], s[0:1], s10, v4, 0
	v_mov_b32_e32 v2, v6
	v_mad_u64_u32 v[6:7], s[0:1], s11, v4, v[2:3]
	ds_read_b32 v2, v12
	v_mov_b32_e32 v7, s56
	v_lshlrev_b64 v[4:5], 2, v[5:6]
	v_add_co_u32_e32 v4, vcc, s33, v4
	v_addc_co_u32_e32 v5, vcc, v7, v5, vcc
	s_waitcnt lgkmcnt(0)
	flat_store_dword v[4:5], v2
	s_branch .LBB9_137
.LBB9_180:
	s_endpgm
	.section	.rodata,"a",@progbits
	.p2align	6, 0x0
	.amdhsa_kernel _ZL19rocblas_tpsv_kernelILb0ELi512EPKPKfPKPfEv18rocblas_operation_bbiT1_llT2_lll
		.amdhsa_group_segment_fixed_size 4096
		.amdhsa_private_segment_fixed_size 0
		.amdhsa_kernarg_size 72
		.amdhsa_user_sgpr_count 6
		.amdhsa_user_sgpr_private_segment_buffer 1
		.amdhsa_user_sgpr_dispatch_ptr 0
		.amdhsa_user_sgpr_queue_ptr 0
		.amdhsa_user_sgpr_kernarg_segment_ptr 1
		.amdhsa_user_sgpr_dispatch_id 0
		.amdhsa_user_sgpr_flat_scratch_init 0
		.amdhsa_user_sgpr_private_segment_size 0
		.amdhsa_uses_dynamic_stack 0
		.amdhsa_system_sgpr_private_segment_wavefront_offset 0
		.amdhsa_system_sgpr_workgroup_id_x 1
		.amdhsa_system_sgpr_workgroup_id_y 0
		.amdhsa_system_sgpr_workgroup_id_z 0
		.amdhsa_system_sgpr_workgroup_info 0
		.amdhsa_system_vgpr_workitem_id 0
		.amdhsa_next_free_vgpr 25
		.amdhsa_next_free_sgpr 64
		.amdhsa_reserve_vcc 1
		.amdhsa_reserve_flat_scratch 0
		.amdhsa_float_round_mode_32 0
		.amdhsa_float_round_mode_16_64 0
		.amdhsa_float_denorm_mode_32 3
		.amdhsa_float_denorm_mode_16_64 3
		.amdhsa_dx10_clamp 1
		.amdhsa_ieee_mode 1
		.amdhsa_fp16_overflow 0
		.amdhsa_exception_fp_ieee_invalid_op 0
		.amdhsa_exception_fp_denorm_src 0
		.amdhsa_exception_fp_ieee_div_zero 0
		.amdhsa_exception_fp_ieee_overflow 0
		.amdhsa_exception_fp_ieee_underflow 0
		.amdhsa_exception_fp_ieee_inexact 0
		.amdhsa_exception_int_div_zero 0
	.end_amdhsa_kernel
	.section	.text._ZL19rocblas_tpsv_kernelILb0ELi512EPKPKfPKPfEv18rocblas_operation_bbiT1_llT2_lll,"axG",@progbits,_ZL19rocblas_tpsv_kernelILb0ELi512EPKPKfPKPfEv18rocblas_operation_bbiT1_llT2_lll,comdat
.Lfunc_end9:
	.size	_ZL19rocblas_tpsv_kernelILb0ELi512EPKPKfPKPfEv18rocblas_operation_bbiT1_llT2_lll, .Lfunc_end9-_ZL19rocblas_tpsv_kernelILb0ELi512EPKPKfPKPfEv18rocblas_operation_bbiT1_llT2_lll
                                        ; -- End function
	.set _ZL19rocblas_tpsv_kernelILb0ELi512EPKPKfPKPfEv18rocblas_operation_bbiT1_llT2_lll.num_vgpr, 25
	.set _ZL19rocblas_tpsv_kernelILb0ELi512EPKPKfPKPfEv18rocblas_operation_bbiT1_llT2_lll.num_agpr, 0
	.set _ZL19rocblas_tpsv_kernelILb0ELi512EPKPKfPKPfEv18rocblas_operation_bbiT1_llT2_lll.numbered_sgpr, 64
	.set _ZL19rocblas_tpsv_kernelILb0ELi512EPKPKfPKPfEv18rocblas_operation_bbiT1_llT2_lll.num_named_barrier, 0
	.set _ZL19rocblas_tpsv_kernelILb0ELi512EPKPKfPKPfEv18rocblas_operation_bbiT1_llT2_lll.private_seg_size, 0
	.set _ZL19rocblas_tpsv_kernelILb0ELi512EPKPKfPKPfEv18rocblas_operation_bbiT1_llT2_lll.uses_vcc, 1
	.set _ZL19rocblas_tpsv_kernelILb0ELi512EPKPKfPKPfEv18rocblas_operation_bbiT1_llT2_lll.uses_flat_scratch, 0
	.set _ZL19rocblas_tpsv_kernelILb0ELi512EPKPKfPKPfEv18rocblas_operation_bbiT1_llT2_lll.has_dyn_sized_stack, 0
	.set _ZL19rocblas_tpsv_kernelILb0ELi512EPKPKfPKPfEv18rocblas_operation_bbiT1_llT2_lll.has_recursion, 0
	.set _ZL19rocblas_tpsv_kernelILb0ELi512EPKPKfPKPfEv18rocblas_operation_bbiT1_llT2_lll.has_indirect_call, 0
	.section	.AMDGPU.csdata,"",@progbits
; Kernel info:
; codeLenInByte = 6952
; TotalNumSgprs: 68
; NumVgprs: 25
; ScratchSize: 0
; MemoryBound: 0
; FloatMode: 240
; IeeeMode: 1
; LDSByteSize: 4096 bytes/workgroup (compile time only)
; SGPRBlocks: 8
; VGPRBlocks: 6
; NumSGPRsForWavesPerEU: 68
; NumVGPRsForWavesPerEU: 25
; Occupancy: 9
; WaveLimiterHint : 1
; COMPUTE_PGM_RSRC2:SCRATCH_EN: 0
; COMPUTE_PGM_RSRC2:USER_SGPR: 6
; COMPUTE_PGM_RSRC2:TRAP_HANDLER: 0
; COMPUTE_PGM_RSRC2:TGID_X_EN: 1
; COMPUTE_PGM_RSRC2:TGID_Y_EN: 0
; COMPUTE_PGM_RSRC2:TGID_Z_EN: 0
; COMPUTE_PGM_RSRC2:TIDIG_COMP_CNT: 0
	.section	.text._ZL19rocblas_tpsv_kernelILb1ELi512EPKPKdPKPdEv18rocblas_operation_bbiT1_llT2_lll,"axG",@progbits,_ZL19rocblas_tpsv_kernelILb1ELi512EPKPKdPKPdEv18rocblas_operation_bbiT1_llT2_lll,comdat
	.globl	_ZL19rocblas_tpsv_kernelILb1ELi512EPKPKdPKPdEv18rocblas_operation_bbiT1_llT2_lll ; -- Begin function _ZL19rocblas_tpsv_kernelILb1ELi512EPKPKdPKPdEv18rocblas_operation_bbiT1_llT2_lll
	.p2align	8
	.type	_ZL19rocblas_tpsv_kernelILb1ELi512EPKPKdPKPdEv18rocblas_operation_bbiT1_llT2_lll,@function
_ZL19rocblas_tpsv_kernelILb1ELi512EPKPKdPKPdEv18rocblas_operation_bbiT1_llT2_lll: ; @_ZL19rocblas_tpsv_kernelILb1ELi512EPKPKdPKPdEv18rocblas_operation_bbiT1_llT2_lll
; %bb.0:
	s_load_dwordx2 s[22:23], s[4:5], 0x0
	s_load_dwordx2 s[14:15], s[4:5], 0x4
	s_load_dwordx4 s[0:3], s[4:5], 0x10
	s_load_dwordx2 s[24:25], s[4:5], 0x28
	s_mov_b32 s7, 0
	s_waitcnt lgkmcnt(0)
	s_bitcmp1_b32 s23, 0
	s_cselect_b64 s[8:9], -1, 0
	s_xor_b64 s[20:21], s[8:9], -1
	s_bitcmp1_b32 s14, 8
	s_cselect_b64 s[12:13], -1, 0
	s_lshl_b64 s[26:27], s[6:7], 3
	s_add_u32 s0, s0, s26
	s_addc_u32 s1, s1, s27
	s_load_dwordx2 s[16:17], s[0:1], 0x0
	s_load_dwordx4 s[8:11], s[4:5], 0x30
	s_lshl_b64 s[18:19], s[2:3], 3
	s_waitcnt lgkmcnt(0)
	s_add_u32 s6, s16, s18
	s_addc_u32 s7, s17, s19
	s_add_u32 s0, s24, s26
	s_addc_u32 s1, s25, s27
	s_load_dwordx2 s[0:1], s[0:1], 0x0
	s_lshl_b64 s[2:3], s[8:9], 3
	s_waitcnt lgkmcnt(0)
	s_add_u32 s33, s0, s2
	s_addc_u32 s58, s1, s3
	s_cmp_gt_i32 s15, 0
	s_cselect_b64 s[8:9], -1, 0
	s_cmpk_lg_i32 s22, 0x6f
	s_mov_b64 s[0:1], -1
	s_cbranch_scc0 .LBB10_93
; %bb.1:
	s_and_b64 vcc, exec, s[20:21]
	s_cbranch_vccz .LBB10_44
; %bb.2:
	s_andn2_b64 vcc, exec, s[8:9]
	s_cbranch_vccnz .LBB10_43
; %bb.3:
	v_lshlrev_b32_e32 v1, 3, v0
	v_or_b32_e32 v15, 0x3000, v1
	v_mov_b32_e32 v2, s19
	v_sub_co_u32_e32 v1, vcc, s18, v1
	v_subbrev_co_u32_e32 v2, vcc, 0, v2, vcc
	v_mov_b32_e32 v3, s17
	v_add_co_u32_e32 v1, vcc, s16, v1
	v_addc_co_u32_e32 v2, vcc, v3, v2, vcc
	s_movk_i32 s0, 0xff8
	s_lshl_b32 s2, s15, 1
	v_add_co_u32_e32 v16, vcc, s0, v1
	s_ashr_i32 s1, s15, 31
	s_mov_b32 s0, s15
	s_add_i32 s26, s15, 0xfffffe00
	s_or_b32 s14, s2, 1
	s_lshl_b64 s[0:1], s[0:1], 3
	s_add_u32 s0, s18, s0
	s_addc_u32 s1, s19, s1
	s_add_u32 s0, s16, s0
	v_sub_u32_e32 v1, s15, v0
	s_addc_u32 s1, s17, s1
	v_add_u32_e32 v18, 0x201, v1
	v_add_u32_e32 v1, s15, v0
	s_add_u32 s4, s0, 0xfffff000
	v_addc_co_u32_e32 v17, vcc, 0, v2, vcc
	v_add_u32_e32 v19, 0xfffffe00, v1
	s_addc_u32 s5, s1, -1
	v_add_u32_e32 v20, 0xfffffc00, v1
	s_ashr_i32 s34, s2, 31
	v_mov_b32_e32 v21, s7
	s_movk_i32 s35, 0x400
	s_movk_i32 s36, 0x401
	;; [unrolled: 1-line block ×5, first 2 shown]
	s_branch .LBB10_5
.LBB10_4:                               ;   in Loop: Header=BB10_5 Depth=1
	s_or_b64 exec, exec, s[22:23]
	s_add_u32 s4, s4, 0xfffff000
	v_add_u32_e32 v18, 0x200, v18
	v_add_u32_e32 v19, 0xfffffe00, v19
	s_addc_u32 s5, s5, -1
	v_add_u32_e32 v20, 0xfffffe00, v20
	s_andn2_b64 vcc, exec, s[2:3]
	s_mov_b32 s26, s40
	s_waitcnt vmcnt(0) lgkmcnt(0)
	s_barrier
	s_cbranch_vccz .LBB10_43
.LBB10_5:                               ; =>This Loop Header: Depth=1
                                        ;     Child Loop BB10_9 Depth 2
                                        ;     Child Loop BB10_21 Depth 2
                                        ;       Child Loop BB10_24 Depth 3
	v_add_u32_e32 v22, s26, v0
	v_cmp_gt_i32_e32 vcc, 0, v22
	v_cmp_lt_i32_e64 s[0:1], -1, v22
	s_and_saveexec_b64 s[22:23], s[0:1]
	s_cbranch_execz .LBB10_7
; %bb.6:                                ;   in Loop: Header=BB10_5 Depth=1
	v_mad_u64_u32 v[1:2], s[2:3], s10, v22, 0
	v_mad_u64_u32 v[2:3], s[2:3], s11, v22, v[2:3]
	v_mov_b32_e32 v3, s58
	v_lshlrev_b64 v[1:2], 3, v[1:2]
	v_add_co_u32_e64 v1, s[2:3], s33, v1
	v_addc_co_u32_e64 v2, s[2:3], v3, v2, s[2:3]
	flat_load_dwordx2 v[1:2], v[1:2]
	s_waitcnt vmcnt(0) lgkmcnt(0)
	ds_write_b64 v15, v[1:2]
.LBB10_7:                               ;   in Loop: Header=BB10_5 Depth=1
	s_or_b64 exec, exec, s[22:23]
	v_mad_u64_u32 v[1:2], s[2:3], v18, v19, 0
	v_ashrrev_i32_e32 v3, 31, v18
	v_sub_u32_e32 v5, s14, v22
	v_mad_u64_u32 v[2:3], s[2:3], v3, v19, v[2:3]
	v_mad_u64_u32 v[3:4], s[2:3], v5, v22, 0
	v_lshlrev_b64 v[1:2], 2, v[1:2]
	v_ashrrev_i32_e32 v5, 31, v5
	v_and_b32_e32 v1, -8, v1
	v_add_co_u32_e64 v1, s[2:3], v16, v1
	v_addc_co_u32_e64 v2, s[2:3], v17, v2, s[2:3]
	v_mad_u64_u32 v[4:5], s[2:3], v5, v22, v[4:5]
	s_not_b32 s2, s26
	v_max_i32_e32 v5, s2, v0
	v_lshlrev_b64 v[3:4], 2, v[3:4]
	s_movk_i32 s27, 0x1ff
	v_and_b32_e32 v3, -8, v3
	v_add_co_u32_e64 v3, s[2:3], s6, v3
	v_addc_co_u32_e64 v4, s[2:3], v21, v4, s[2:3]
	s_or_b64 s[2:3], vcc, s[12:13]
	s_movk_i32 s28, 0x3ff0
	s_xor_b64 s[2:3], s[2:3], -1
	s_xor_b64 s[22:23], vcc, -1
	v_add_u32_e32 v6, 0xfffffe01, v0
	s_waitcnt lgkmcnt(0)
	s_barrier
	s_branch .LBB10_9
.LBB10_8:                               ;   in Loop: Header=BB10_9 Depth=2
	s_or_b64 exec, exec, s[24:25]
	s_add_i32 s27, s27, -2
	v_add_co_u32_e32 v1, vcc, -16, v1
	s_add_i32 s28, s28, -16
	v_addc_co_u32_e32 v2, vcc, -1, v2, vcc
	s_cmp_eq_u32 s29, 0
	v_add_u32_e32 v6, 2, v6
	s_cbranch_scc1 .LBB10_17
.LBB10_9:                               ;   Parent Loop BB10_5 Depth=1
                                        ; =>  This Inner Loop Header: Depth=2
	v_cmp_eq_u32_e32 vcc, 0, v6
	s_and_b64 s[30:31], vcc, s[2:3]
	s_and_saveexec_b64 s[24:25], s[30:31]
	s_cbranch_execz .LBB10_11
; %bb.10:                               ;   in Loop: Header=BB10_9 Depth=2
	flat_load_dwordx2 v[7:8], v[3:4]
	ds_read_b64 v[9:10], v15
	s_waitcnt vmcnt(0) lgkmcnt(0)
	v_div_scale_f64 v[11:12], s[30:31], v[7:8], v[7:8], v[9:10]
	v_div_scale_f64 v[25:26], vcc, v[9:10], v[7:8], v[9:10]
	v_rcp_f64_e32 v[13:14], v[11:12]
	v_fma_f64 v[23:24], -v[11:12], v[13:14], 1.0
	v_fma_f64 v[13:14], v[13:14], v[23:24], v[13:14]
	v_fma_f64 v[23:24], -v[11:12], v[13:14], 1.0
	v_fma_f64 v[13:14], v[13:14], v[23:24], v[13:14]
	v_mul_f64 v[23:24], v[25:26], v[13:14]
	v_fma_f64 v[11:12], -v[11:12], v[23:24], v[25:26]
	v_div_fmas_f64 v[11:12], v[11:12], v[13:14], v[23:24]
	v_div_fixup_f64 v[7:8], v[11:12], v[7:8], v[9:10]
	ds_write_b64 v15, v[7:8]
.LBB10_11:                              ;   in Loop: Header=BB10_9 Depth=2
	s_or_b64 exec, exec, s[24:25]
	v_cmp_gt_u32_e32 vcc, s27, v5
	s_and_b64 s[30:31], s[22:23], vcc
	s_waitcnt lgkmcnt(0)
	s_barrier
	s_and_saveexec_b64 s[24:25], s[30:31]
	s_cbranch_execz .LBB10_13
; %bb.12:                               ;   in Loop: Header=BB10_9 Depth=2
	flat_load_dwordx2 v[7:8], v[1:2]
	v_mov_b32_e32 v9, s28
	ds_read_b64 v[9:10], v9 offset:8
	ds_read_b64 v[11:12], v15
	s_waitcnt vmcnt(0) lgkmcnt(0)
	v_fma_f64 v[7:8], -v[7:8], v[9:10], v[11:12]
	ds_write_b64 v15, v[7:8]
.LBB10_13:                              ;   in Loop: Header=BB10_9 Depth=2
	s_or_b64 exec, exec, s[24:25]
	s_add_i32 s29, s27, -1
	v_cmp_eq_u32_e32 vcc, s29, v0
	s_and_b64 s[30:31], vcc, s[2:3]
	s_and_saveexec_b64 s[24:25], s[30:31]
	s_cbranch_execz .LBB10_15
; %bb.14:                               ;   in Loop: Header=BB10_9 Depth=2
	flat_load_dwordx2 v[7:8], v[3:4]
	ds_read_b64 v[9:10], v15
	s_waitcnt vmcnt(0) lgkmcnt(0)
	v_div_scale_f64 v[11:12], s[30:31], v[7:8], v[7:8], v[9:10]
	v_div_scale_f64 v[25:26], vcc, v[9:10], v[7:8], v[9:10]
	v_rcp_f64_e32 v[13:14], v[11:12]
	v_fma_f64 v[23:24], -v[11:12], v[13:14], 1.0
	v_fma_f64 v[13:14], v[13:14], v[23:24], v[13:14]
	v_fma_f64 v[23:24], -v[11:12], v[13:14], 1.0
	v_fma_f64 v[13:14], v[13:14], v[23:24], v[13:14]
	v_mul_f64 v[23:24], v[25:26], v[13:14]
	v_fma_f64 v[11:12], -v[11:12], v[23:24], v[25:26]
	v_div_fmas_f64 v[11:12], v[11:12], v[13:14], v[23:24]
	v_div_fixup_f64 v[7:8], v[11:12], v[7:8], v[9:10]
	ds_write_b64 v15, v[7:8]
.LBB10_15:                              ;   in Loop: Header=BB10_9 Depth=2
	s_or_b64 exec, exec, s[24:25]
	v_cmp_gt_u32_e32 vcc, s29, v5
	s_and_b64 s[30:31], s[22:23], vcc
	s_waitcnt lgkmcnt(0)
	s_barrier
	s_and_saveexec_b64 s[24:25], s[30:31]
	s_cbranch_execz .LBB10_8
; %bb.16:                               ;   in Loop: Header=BB10_9 Depth=2
	v_add_co_u32_e32 v7, vcc, -8, v1
	v_addc_co_u32_e32 v8, vcc, -1, v2, vcc
	flat_load_dwordx2 v[7:8], v[7:8]
	v_mov_b32_e32 v9, s28
	ds_read_b64 v[9:10], v9
	ds_read_b64 v[11:12], v15
	s_waitcnt vmcnt(0) lgkmcnt(0)
	v_fma_f64 v[7:8], -v[7:8], v[9:10], v[11:12]
	ds_write_b64 v15, v[7:8]
	s_branch .LBB10_8
.LBB10_17:                              ;   in Loop: Header=BB10_5 Depth=1
	s_add_i32 s40, s26, 0xfffffe00
	s_cmp_lt_i32 s26, 1
	s_cselect_b64 s[2:3], -1, 0
	s_and_b64 vcc, exec, s[2:3]
	s_waitcnt lgkmcnt(0)
	s_barrier
	s_cbranch_vccnz .LBB10_41
; %bb.18:                               ;   in Loop: Header=BB10_5 Depth=1
	v_mad_i64_i32 v[1:2], s[22:23], v20, -8, s[4:5]
	v_ashrrev_i32_e32 v3, 31, v20
	v_mov_b32_e32 v4, s34
	v_sub_co_u32_e32 v23, vcc, s14, v20
	v_subb_co_u32_e32 v24, vcc, v4, v3, vcc
	s_mov_b64 s[22:23], 0
	v_mov_b32_e32 v25, v20
	v_mov_b32_e32 v26, v0
	s_mov_b32 s41, s40
                                        ; implicit-def: $sgpr24_sgpr25
	s_branch .LBB10_21
.LBB10_19:                              ;   in Loop: Header=BB10_21 Depth=2
	v_mad_u64_u32 v[5:6], s[28:29], s10, v27, 0
	s_add_i32 s30, s41, 0xfffffe00
	s_cmp_lt_i32 s41, 1
	v_mad_u64_u32 v[6:7], s[28:29], s11, v27, v[6:7]
	v_mov_b32_e32 v7, s58
	s_cselect_b64 s[28:29], -1, 0
	v_lshlrev_b64 v[5:6], 3, v[5:6]
	s_andn2_b64 s[24:25], s[24:25], exec
	v_add_co_u32_e32 v5, vcc, s33, v5
	v_addc_co_u32_e32 v6, vcc, v7, v6, vcc
	flat_load_dwordx2 v[7:8], v[5:6]
	v_add_co_u32_e32 v1, vcc, s39, v1
	v_addc_co_u32_e32 v2, vcc, 0, v2, vcc
	v_add_co_u32_e32 v23, vcc, 0x200, v23
	s_and_b64 s[28:29], s[28:29], exec
	v_add_u32_e32 v26, 0xfffffe00, v26
	v_add_u32_e32 v25, 0xfffffe00, v25
	v_addc_co_u32_e32 v24, vcc, 0, v24, vcc
	s_or_b64 s[24:25], s[24:25], s[28:29]
	s_mov_b32 s41, s30
	s_waitcnt vmcnt(0) lgkmcnt(0)
	v_add_f64 v[3:4], v[7:8], -v[3:4]
	flat_store_dwordx2 v[5:6], v[3:4]
.LBB10_20:                              ;   in Loop: Header=BB10_21 Depth=2
	s_or_b64 exec, exec, s[26:27]
	s_and_b64 s[26:27], exec, s[24:25]
	s_or_b64 s[22:23], s[26:27], s[22:23]
	s_andn2_b64 exec, exec, s[22:23]
	s_cbranch_execz .LBB10_40
.LBB10_21:                              ;   Parent Loop BB10_5 Depth=1
                                        ; =>  This Loop Header: Depth=2
                                        ;       Child Loop BB10_24 Depth 3
	v_add_u32_e32 v27, s41, v0
	v_cmp_lt_i32_e32 vcc, -1, v27
	s_or_b64 s[24:25], s[24:25], exec
	s_and_saveexec_b64 s[26:27], vcc
	s_cbranch_execz .LBB10_20
; %bb.22:                               ;   in Loop: Header=BB10_21 Depth=2
	v_mad_u64_u32 v[5:6], s[28:29], v23, v25, 0
	s_movk_i32 s42, 0x3000
	s_movk_i32 s43, 0x200
	v_mov_b32_e32 v3, v6
	v_mad_u64_u32 v[6:7], s[28:29], v24, v25, v[3:4]
	v_mov_b32_e32 v3, 0
	v_mov_b32_e32 v4, 0
	v_lshlrev_b64 v[5:6], 2, v[5:6]
	v_and_b32_e32 v5, -8, v5
	v_add_co_u32_e32 v5, vcc, v1, v5
	v_addc_co_u32_e32 v6, vcc, v2, v6, vcc
	s_branch .LBB10_24
.LBB10_23:                              ;   in Loop: Header=BB10_24 Depth=3
	s_or_b64 exec, exec, s[28:29]
	s_waitcnt lgkmcnt(0)
	v_add_f64 v[3:4], v[3:4], v[7:8]
	s_add_i32 s42, s42, 32
	s_add_i32 s43, s43, -4
	v_add_co_u32_e32 v5, vcc, 32, v5
	s_cmp_eq_u32 s43, 0
	v_addc_co_u32_e32 v6, vcc, 0, v6, vcc
	v_add_f64 v[3:4], v[3:4], v[9:10]
	v_add_f64 v[3:4], v[3:4], v[11:12]
	;; [unrolled: 1-line block ×3, first 2 shown]
	s_cbranch_scc1 .LBB10_19
.LBB10_24:                              ;   Parent Loop BB10_5 Depth=1
                                        ;     Parent Loop BB10_21 Depth=2
                                        ; =>    This Inner Loop Header: Depth=3
	v_add_u32_e32 v13, s43, v26
	v_cmp_ne_u32_e32 vcc, s35, v13
	s_xor_b64 s[28:29], s[12:13], -1
	s_or_b64 s[30:31], s[28:29], vcc
                                        ; implicit-def: $vgpr7_vgpr8
	s_and_saveexec_b64 s[44:45], s[30:31]
	s_xor_b64 s[30:31], exec, s[44:45]
	s_cbranch_execz .LBB10_26
; %bb.25:                               ;   in Loop: Header=BB10_24 Depth=3
	flat_load_dwordx2 v[7:8], v[5:6]
	v_mov_b32_e32 v9, s42
	ds_read_b64 v[9:10], v9
	s_waitcnt vmcnt(0) lgkmcnt(0)
	v_mul_f64 v[7:8], v[7:8], v[9:10]
.LBB10_26:                              ;   in Loop: Header=BB10_24 Depth=3
	s_andn2_saveexec_b64 s[30:31], s[30:31]
; %bb.27:                               ;   in Loop: Header=BB10_24 Depth=3
	v_mov_b32_e32 v7, s42
	ds_read_b64 v[7:8], v7
; %bb.28:                               ;   in Loop: Header=BB10_24 Depth=3
	s_or_b64 exec, exec, s[30:31]
	v_cmp_ne_u32_e32 vcc, s36, v13
	s_or_b64 s[30:31], s[28:29], vcc
                                        ; implicit-def: $vgpr9_vgpr10
	s_and_saveexec_b64 s[44:45], s[30:31]
	s_xor_b64 s[30:31], exec, s[44:45]
	s_cbranch_execz .LBB10_30
; %bb.29:                               ;   in Loop: Header=BB10_24 Depth=3
	flat_load_dwordx2 v[9:10], v[5:6] offset:8
	v_mov_b32_e32 v11, s42
	ds_read_b64 v[11:12], v11 offset:8
	s_waitcnt vmcnt(0) lgkmcnt(0)
	v_mul_f64 v[9:10], v[9:10], v[11:12]
.LBB10_30:                              ;   in Loop: Header=BB10_24 Depth=3
	s_andn2_saveexec_b64 s[30:31], s[30:31]
; %bb.31:                               ;   in Loop: Header=BB10_24 Depth=3
	v_mov_b32_e32 v9, s42
	ds_read_b64 v[9:10], v9 offset:8
; %bb.32:                               ;   in Loop: Header=BB10_24 Depth=3
	s_or_b64 exec, exec, s[30:31]
	v_cmp_ne_u32_e32 vcc, s37, v13
	s_or_b64 s[30:31], s[28:29], vcc
                                        ; implicit-def: $vgpr11_vgpr12
	s_and_saveexec_b64 s[44:45], s[30:31]
	s_xor_b64 s[30:31], exec, s[44:45]
	s_cbranch_execz .LBB10_34
; %bb.33:                               ;   in Loop: Header=BB10_24 Depth=3
	flat_load_dwordx2 v[11:12], v[5:6] offset:16
	v_mov_b32_e32 v14, s42
	ds_read_b64 v[28:29], v14 offset:16
	s_waitcnt vmcnt(0) lgkmcnt(0)
	v_mul_f64 v[11:12], v[11:12], v[28:29]
.LBB10_34:                              ;   in Loop: Header=BB10_24 Depth=3
	s_andn2_saveexec_b64 s[30:31], s[30:31]
; %bb.35:                               ;   in Loop: Header=BB10_24 Depth=3
	v_mov_b32_e32 v11, s42
	ds_read_b64 v[11:12], v11 offset:16
; %bb.36:                               ;   in Loop: Header=BB10_24 Depth=3
	s_or_b64 exec, exec, s[30:31]
	v_cmp_ne_u32_e32 vcc, s38, v13
	s_or_b64 s[28:29], s[28:29], vcc
                                        ; implicit-def: $vgpr13_vgpr14
	s_and_saveexec_b64 s[30:31], s[28:29]
	s_xor_b64 s[28:29], exec, s[30:31]
	s_cbranch_execz .LBB10_38
; %bb.37:                               ;   in Loop: Header=BB10_24 Depth=3
	flat_load_dwordx2 v[13:14], v[5:6] offset:24
	v_mov_b32_e32 v28, s42
	ds_read_b64 v[28:29], v28 offset:24
	s_waitcnt vmcnt(0) lgkmcnt(0)
	v_mul_f64 v[13:14], v[13:14], v[28:29]
.LBB10_38:                              ;   in Loop: Header=BB10_24 Depth=3
	s_andn2_saveexec_b64 s[28:29], s[28:29]
	s_cbranch_execz .LBB10_23
; %bb.39:                               ;   in Loop: Header=BB10_24 Depth=3
	v_mov_b32_e32 v13, s42
	ds_read_b64 v[13:14], v13 offset:24
	s_branch .LBB10_23
.LBB10_40:                              ;   in Loop: Header=BB10_5 Depth=1
	s_or_b64 exec, exec, s[22:23]
.LBB10_41:                              ;   in Loop: Header=BB10_5 Depth=1
	s_and_saveexec_b64 s[22:23], s[0:1]
	s_cbranch_execz .LBB10_4
; %bb.42:                               ;   in Loop: Header=BB10_5 Depth=1
	v_mad_u64_u32 v[1:2], s[0:1], s10, v22, 0
	v_mov_b32_e32 v5, s58
	v_mad_u64_u32 v[2:3], s[0:1], s11, v22, v[2:3]
	ds_read_b64 v[3:4], v15
	v_lshlrev_b64 v[1:2], 3, v[1:2]
	v_add_co_u32_e32 v1, vcc, s33, v1
	v_addc_co_u32_e32 v2, vcc, v5, v2, vcc
	s_waitcnt lgkmcnt(0)
	flat_store_dwordx2 v[1:2], v[3:4]
	s_branch .LBB10_4
.LBB10_43:
	s_mov_b64 s[0:1], 0
.LBB10_44:
	s_andn2_b64 vcc, exec, s[0:1]
	s_cbranch_vccnz .LBB10_92
; %bb.45:
	s_andn2_b64 vcc, exec, s[8:9]
	s_cbranch_vccnz .LBB10_92
; %bb.46:
	v_mov_b32_e32 v1, 0x1000
	v_mov_b32_e32 v2, 0
	v_lshl_or_b32 v15, v0, 3, v1
	v_mov_b32_e32 v1, v2
	v_mad_u64_u32 v[3:4], s[0:1], v0, v0, v[0:1]
	v_lshlrev_b32_e32 v1, 10, v0
	v_add_co_u32_e32 v7, vcc, 0x40200, v1
	v_or_b32_e32 v1, 0x200, v0
	v_mov_b32_e32 v6, v2
	v_addc_co_u32_e64 v8, s[0:1], 0, 0, vcc
	s_mov_b32 s14, 0
	v_add_u32_e32 v16, 0x201, v0
	v_mov_b32_e32 v17, s7
	s_xor_b64 s[22:23], s[12:13], -1
	v_mov_b32_e32 v5, v1
	s_mov_b64 s[24:25], s[6:7]
	s_branch .LBB10_48
.LBB10_47:                              ;   in Loop: Header=BB10_48 Depth=1
	s_or_b64 exec, exec, s[4:5]
	v_add_co_u32_e32 v9, vcc, 0x80000, v7
	v_addc_co_u32_e32 v10, vcc, 0, v8, vcc
	v_add_co_u32_e32 v3, vcc, v3, v7
	v_addc_co_u32_e32 v4, vcc, v4, v8, vcc
	v_add_co_u32_e32 v5, vcc, 0x200, v5
	s_add_u32 s24, s24, 0x1000
	v_addc_co_u32_e32 v6, vcc, 0, v6, vcc
	v_mov_b32_e32 v7, v9
	s_addc_u32 s25, s25, 0
	v_add_u32_e32 v16, 0x200, v16
	s_and_b64 vcc, exec, s[2:3]
	v_mov_b32_e32 v8, v10
	s_mov_b32 s14, s34
	s_waitcnt vmcnt(0) lgkmcnt(0)
	s_barrier
	s_cbranch_vccnz .LBB10_92
.LBB10_48:                              ; =>This Loop Header: Depth=1
                                        ;     Child Loop BB10_52 Depth 2
                                        ;     Child Loop BB10_66 Depth 2
                                        ;       Child Loop BB10_69 Depth 3
	v_add_u32_e32 v18, s14, v0
	v_cmp_le_i32_e32 vcc, s15, v18
	v_cmp_gt_i32_e64 s[0:1], s15, v18
	s_and_saveexec_b64 s[4:5], s[0:1]
	s_cbranch_execz .LBB10_50
; %bb.49:                               ;   in Loop: Header=BB10_48 Depth=1
	v_mad_u64_u32 v[9:10], s[2:3], s10, v18, 0
	v_mov_b32_e32 v1, v10
	v_mad_u64_u32 v[10:11], s[2:3], s11, v18, v[1:2]
	v_mov_b32_e32 v1, s58
	v_lshlrev_b64 v[9:10], 3, v[9:10]
	v_add_co_u32_e64 v9, s[2:3], s33, v9
	v_addc_co_u32_e64 v10, s[2:3], v1, v10, s[2:3]
	flat_load_dwordx2 v[9:10], v[9:10]
	s_waitcnt vmcnt(0) lgkmcnt(0)
	ds_write_b64 v15, v[9:10]
.LBB10_50:                              ;   in Loop: Header=BB10_48 Depth=1
	s_or_b64 exec, exec, s[4:5]
	v_lshlrev_b64 v[9:10], 2, v[3:4]
	v_mov_b32_e32 v19, s25
	v_and_b32_e32 v1, -8, v9
	v_add_co_u32_e64 v9, s[2:3], s24, v1
	v_or_b32_e32 v1, s14, v0
	v_add_u32_e32 v11, 1, v1
	v_addc_co_u32_e64 v10, s[2:3], v19, v10, s[2:3]
	v_mad_u64_u32 v[11:12], s[2:3], v11, v1, 0
	v_cmp_le_i32_e64 s[2:3], s15, v1
	s_mov_b32 s29, 0
	v_lshlrev_b64 v[11:12], 2, v[11:12]
	s_movk_i32 s28, 0x1000
	v_and_b32_e32 v11, -8, v11
	v_add_co_u32_e64 v13, s[4:5], s6, v11
	v_addc_co_u32_e64 v14, s[4:5], v17, v12, s[4:5]
	v_lshlrev_b64 v[11:12], 3, v[1:2]
	s_waitcnt lgkmcnt(0)
	v_add_co_u32_e64 v11, s[4:5], v13, v11
	v_addc_co_u32_e64 v12, s[4:5], v14, v12, s[4:5]
	s_xor_b64 s[4:5], vcc, -1
	s_barrier
	s_branch .LBB10_52
.LBB10_51:                              ;   in Loop: Header=BB10_52 Depth=2
	s_or_b64 exec, exec, s[26:27]
	s_add_i32 s28, s28, 16
	s_add_i32 s29, s30, 1
	v_add_co_u32_e32 v9, vcc, 16, v9
	s_cmpk_eq_i32 s29, 0x200
	v_addc_co_u32_e32 v10, vcc, 0, v10, vcc
	s_cbranch_scc1 .LBB10_62
.LBB10_52:                              ;   Parent Loop BB10_48 Depth=1
                                        ; =>  This Inner Loop Header: Depth=2
	v_cmp_ne_u32_e32 vcc, s29, v0
	s_or_b64 s[26:27], s[12:13], vcc
	s_nor_b64 s[30:31], s[26:27], s[2:3]
	s_and_saveexec_b64 s[26:27], s[30:31]
	s_cbranch_execz .LBB10_54
; %bb.53:                               ;   in Loop: Header=BB10_52 Depth=2
	flat_load_dwordx2 v[13:14], v[11:12]
	ds_read_b64 v[20:21], v15
	s_waitcnt vmcnt(0) lgkmcnt(0)
	v_div_scale_f64 v[22:23], s[30:31], v[13:14], v[13:14], v[20:21]
	v_div_scale_f64 v[28:29], vcc, v[20:21], v[13:14], v[20:21]
	v_rcp_f64_e32 v[24:25], v[22:23]
	v_fma_f64 v[26:27], -v[22:23], v[24:25], 1.0
	v_fma_f64 v[24:25], v[24:25], v[26:27], v[24:25]
	v_fma_f64 v[26:27], -v[22:23], v[24:25], 1.0
	v_fma_f64 v[24:25], v[24:25], v[26:27], v[24:25]
	v_mul_f64 v[26:27], v[28:29], v[24:25]
	v_fma_f64 v[22:23], -v[22:23], v[26:27], v[28:29]
	v_div_fmas_f64 v[22:23], v[22:23], v[24:25], v[26:27]
	v_div_fixup_f64 v[13:14], v[22:23], v[13:14], v[20:21]
	ds_write_b64 v15, v[13:14]
.LBB10_54:                              ;   in Loop: Header=BB10_52 Depth=2
	s_or_b64 exec, exec, s[26:27]
	v_cmp_lt_u32_e32 vcc, s29, v0
	s_waitcnt lgkmcnt(0)
	s_barrier
	s_and_saveexec_b64 s[26:27], vcc
	s_cbranch_execz .LBB10_57
; %bb.55:                               ;   in Loop: Header=BB10_52 Depth=2
	s_add_i32 s30, s14, s29
	s_cmp_lt_i32 s30, s15
	s_cselect_b64 s[30:31], -1, 0
	s_and_b64 s[30:31], s[4:5], s[30:31]
	s_and_b64 exec, exec, s[30:31]
	s_cbranch_execz .LBB10_57
; %bb.56:                               ;   in Loop: Header=BB10_52 Depth=2
	flat_load_dwordx2 v[13:14], v[9:10]
	v_mov_b32_e32 v1, s28
	ds_read_b64 v[20:21], v1
	ds_read_b64 v[22:23], v15
	s_waitcnt vmcnt(0) lgkmcnt(0)
	v_fma_f64 v[13:14], -v[13:14], v[20:21], v[22:23]
	ds_write_b64 v15, v[13:14]
.LBB10_57:                              ;   in Loop: Header=BB10_52 Depth=2
	s_or_b64 exec, exec, s[26:27]
	s_add_i32 s30, s29, 1
	v_cmp_ne_u32_e32 vcc, s30, v0
	s_or_b64 s[26:27], s[12:13], vcc
	s_nor_b64 s[34:35], s[26:27], s[2:3]
	s_and_saveexec_b64 s[26:27], s[34:35]
	s_cbranch_execz .LBB10_59
; %bb.58:                               ;   in Loop: Header=BB10_52 Depth=2
	flat_load_dwordx2 v[13:14], v[11:12]
	ds_read_b64 v[20:21], v15
	s_waitcnt vmcnt(0) lgkmcnt(0)
	v_div_scale_f64 v[22:23], s[34:35], v[13:14], v[13:14], v[20:21]
	v_div_scale_f64 v[28:29], vcc, v[20:21], v[13:14], v[20:21]
	v_rcp_f64_e32 v[24:25], v[22:23]
	v_fma_f64 v[26:27], -v[22:23], v[24:25], 1.0
	v_fma_f64 v[24:25], v[24:25], v[26:27], v[24:25]
	v_fma_f64 v[26:27], -v[22:23], v[24:25], 1.0
	v_fma_f64 v[24:25], v[24:25], v[26:27], v[24:25]
	v_mul_f64 v[26:27], v[28:29], v[24:25]
	v_fma_f64 v[22:23], -v[22:23], v[26:27], v[28:29]
	v_div_fmas_f64 v[22:23], v[22:23], v[24:25], v[26:27]
	v_div_fixup_f64 v[13:14], v[22:23], v[13:14], v[20:21]
	ds_write_b64 v15, v[13:14]
.LBB10_59:                              ;   in Loop: Header=BB10_52 Depth=2
	s_or_b64 exec, exec, s[26:27]
	v_cmp_lt_u32_e32 vcc, s30, v0
	s_waitcnt lgkmcnt(0)
	s_barrier
	s_and_saveexec_b64 s[26:27], vcc
	s_cbranch_execz .LBB10_51
; %bb.60:                               ;   in Loop: Header=BB10_52 Depth=2
	s_add_i32 s29, s14, s29
	s_add_i32 s29, s29, 1
	s_cmp_lt_i32 s29, s15
	s_cselect_b64 s[34:35], -1, 0
	s_and_b64 s[34:35], s[4:5], s[34:35]
	s_and_b64 exec, exec, s[34:35]
	s_cbranch_execz .LBB10_51
; %bb.61:                               ;   in Loop: Header=BB10_52 Depth=2
	flat_load_dwordx2 v[13:14], v[9:10] offset:8
	v_mov_b32_e32 v1, s28
	ds_read_b64 v[20:21], v1 offset:8
	ds_read_b64 v[22:23], v15
	s_waitcnt vmcnt(0) lgkmcnt(0)
	v_fma_f64 v[13:14], -v[13:14], v[20:21], v[22:23]
	ds_write_b64 v15, v[13:14]
	s_branch .LBB10_51
.LBB10_62:                              ;   in Loop: Header=BB10_48 Depth=1
	s_add_i32 s34, s14, 0x200
	s_cmp_ge_i32 s34, s15
	s_cselect_b64 s[2:3], -1, 0
	s_and_b64 vcc, exec, s[2:3]
	s_waitcnt lgkmcnt(0)
	s_barrier
	s_cbranch_vccnz .LBB10_90
; %bb.63:                               ;   in Loop: Header=BB10_48 Depth=1
	v_mov_b32_e32 v10, v6
	s_mov_b64 s[4:5], 0
	v_mov_b32_e32 v1, v16
	v_mov_b32_e32 v9, v5
	;; [unrolled: 1-line block ×3, first 2 shown]
	s_mov_b32 s35, s34
                                        ; implicit-def: $sgpr26_sgpr27
	s_branch .LBB10_66
.LBB10_64:                              ;   in Loop: Header=BB10_66 Depth=2
	v_mad_u64_u32 v[13:14], s[30:31], s10, v21, 0
	s_addk_i32 s35, 0x200
	s_cmp_ge_i32 s35, s15
	v_mad_u64_u32 v[21:22], s[30:31], s11, v21, v[14:15]
	v_mov_b32_e32 v22, s58
	s_cselect_b64 s[30:31], -1, 0
	v_mov_b32_e32 v14, v21
	v_lshlrev_b64 v[13:14], 3, v[13:14]
	s_andn2_b64 s[26:27], s[26:27], exec
	v_add_co_u32_e32 v13, vcc, s33, v13
	v_addc_co_u32_e32 v14, vcc, v22, v14, vcc
	flat_load_dwordx2 v[21:22], v[13:14]
	v_add_co_u32_e32 v9, vcc, 0x200, v9
	s_and_b64 s[30:31], s[30:31], exec
	v_add_u32_e32 v1, 0x200, v1
	v_addc_co_u32_e32 v10, vcc, 0, v10, vcc
	s_or_b64 s[26:27], s[26:27], s[30:31]
	s_waitcnt vmcnt(0) lgkmcnt(0)
	v_add_f64 v[11:12], v[21:22], -v[11:12]
	flat_store_dwordx2 v[13:14], v[11:12]
.LBB10_65:                              ;   in Loop: Header=BB10_66 Depth=2
	s_or_b64 exec, exec, s[28:29]
	s_and_b64 s[28:29], exec, s[26:27]
	s_or_b64 s[4:5], s[28:29], s[4:5]
	s_andn2_b64 exec, exec, s[4:5]
	s_cbranch_execz .LBB10_89
.LBB10_66:                              ;   Parent Loop BB10_48 Depth=1
                                        ; =>  This Loop Header: Depth=2
                                        ;       Child Loop BB10_69 Depth 3
	v_add_u32_e32 v21, s35, v0
	v_cmp_gt_i32_e32 vcc, s15, v21
	s_or_b64 s[26:27], s[26:27], exec
	s_and_saveexec_b64 s[28:29], vcc
	s_cbranch_execz .LBB10_65
; %bb.67:                               ;   in Loop: Header=BB10_66 Depth=2
	v_mad_u64_u32 v[11:12], s[30:31], v9, v1, 0
	v_add_u32_e32 v22, 0x1fd, v20
	v_add_u32_e32 v23, 0x1fe, v20
	v_mad_u64_u32 v[12:13], s[30:31], v10, v1, v[12:13]
	v_add_u32_e32 v24, 0x1ff, v20
	v_add_u32_e32 v20, 0x200, v20
	v_lshlrev_b64 v[11:12], 2, v[11:12]
	s_mov_b32 s36, 0
	v_and_b32_e32 v11, -8, v11
	v_add_co_u32_e32 v13, vcc, s24, v11
	v_addc_co_u32_e32 v14, vcc, v19, v12, vcc
	v_mov_b32_e32 v11, 0
	v_mov_b32_e32 v12, 0
	s_movk_i32 s37, 0x1000
	s_branch .LBB10_69
.LBB10_68:                              ;   in Loop: Header=BB10_69 Depth=3
	s_or_b64 exec, exec, s[30:31]
	s_add_i32 s36, s36, 4
	s_add_i32 s37, s37, 32
	v_add_co_u32_e32 v13, vcc, 32, v13
	s_cmpk_eq_i32 s36, 0x200
	v_addc_co_u32_e32 v14, vcc, 0, v14, vcc
	s_cbranch_scc1 .LBB10_64
.LBB10_69:                              ;   Parent Loop BB10_48 Depth=1
                                        ;     Parent Loop BB10_66 Depth=2
                                        ; =>    This Inner Loop Header: Depth=3
	v_cmp_ne_u32_e32 vcc, s36, v20
	s_add_i32 s38, s14, s36
	s_or_b64 s[30:31], s[22:23], vcc
	s_and_saveexec_b64 s[40:41], s[30:31]
	s_xor_b64 s[30:31], exec, s[40:41]
	s_cbranch_execz .LBB10_72
; %bb.70:                               ;   in Loop: Header=BB10_69 Depth=3
	s_cmp_ge_i32 s38, s15
	s_cbranch_scc1 .LBB10_72
; %bb.71:                               ;   in Loop: Header=BB10_69 Depth=3
	flat_load_dwordx2 v[25:26], v[13:14]
	v_mov_b32_e32 v27, s37
	ds_read_b64 v[27:28], v27
	s_waitcnt vmcnt(0) lgkmcnt(0)
	v_fma_f64 v[11:12], v[25:26], v[27:28], v[11:12]
.LBB10_72:                              ;   in Loop: Header=BB10_69 Depth=3
	s_andn2_saveexec_b64 s[30:31], s[30:31]
	s_cbranch_execz .LBB10_74
; %bb.73:                               ;   in Loop: Header=BB10_69 Depth=3
	v_mov_b32_e32 v25, s37
	ds_read_b64 v[25:26], v25
	s_waitcnt lgkmcnt(0)
	v_add_f64 v[11:12], v[11:12], v[25:26]
.LBB10_74:                              ;   in Loop: Header=BB10_69 Depth=3
	s_or_b64 exec, exec, s[30:31]
	v_cmp_ne_u32_e32 vcc, s36, v24
	s_or_b64 s[30:31], s[22:23], vcc
	s_and_saveexec_b64 s[40:41], s[30:31]
	s_xor_b64 s[30:31], exec, s[40:41]
	s_cbranch_execz .LBB10_77
; %bb.75:                               ;   in Loop: Header=BB10_69 Depth=3
	s_add_i32 s39, s38, 1
	s_cmp_ge_i32 s39, s15
	s_cbranch_scc1 .LBB10_77
; %bb.76:                               ;   in Loop: Header=BB10_69 Depth=3
	flat_load_dwordx2 v[25:26], v[13:14] offset:8
	v_mov_b32_e32 v27, s37
	ds_read_b64 v[27:28], v27 offset:8
	s_waitcnt vmcnt(0) lgkmcnt(0)
	v_fma_f64 v[11:12], v[25:26], v[27:28], v[11:12]
.LBB10_77:                              ;   in Loop: Header=BB10_69 Depth=3
	s_andn2_saveexec_b64 s[30:31], s[30:31]
	s_cbranch_execz .LBB10_79
; %bb.78:                               ;   in Loop: Header=BB10_69 Depth=3
	v_mov_b32_e32 v25, s37
	ds_read_b64 v[25:26], v25 offset:8
	s_waitcnt lgkmcnt(0)
	v_add_f64 v[11:12], v[11:12], v[25:26]
.LBB10_79:                              ;   in Loop: Header=BB10_69 Depth=3
	s_or_b64 exec, exec, s[30:31]
	v_cmp_ne_u32_e32 vcc, s36, v23
	s_or_b64 s[30:31], s[22:23], vcc
	s_and_saveexec_b64 s[40:41], s[30:31]
	s_xor_b64 s[30:31], exec, s[40:41]
	s_cbranch_execz .LBB10_82
; %bb.80:                               ;   in Loop: Header=BB10_69 Depth=3
	s_add_i32 s39, s38, 2
	s_cmp_ge_i32 s39, s15
	s_cbranch_scc1 .LBB10_82
; %bb.81:                               ;   in Loop: Header=BB10_69 Depth=3
	flat_load_dwordx2 v[25:26], v[13:14] offset:16
	v_mov_b32_e32 v27, s37
	ds_read_b64 v[27:28], v27 offset:16
	s_waitcnt vmcnt(0) lgkmcnt(0)
	v_fma_f64 v[11:12], v[25:26], v[27:28], v[11:12]
.LBB10_82:                              ;   in Loop: Header=BB10_69 Depth=3
	s_andn2_saveexec_b64 s[30:31], s[30:31]
	s_cbranch_execz .LBB10_84
; %bb.83:                               ;   in Loop: Header=BB10_69 Depth=3
	v_mov_b32_e32 v25, s37
	ds_read_b64 v[25:26], v25 offset:16
	s_waitcnt lgkmcnt(0)
	v_add_f64 v[11:12], v[11:12], v[25:26]
.LBB10_84:                              ;   in Loop: Header=BB10_69 Depth=3
	s_or_b64 exec, exec, s[30:31]
	v_cmp_ne_u32_e32 vcc, s36, v22
	s_or_b64 s[30:31], s[22:23], vcc
	s_and_saveexec_b64 s[40:41], s[30:31]
	s_xor_b64 s[30:31], exec, s[40:41]
	s_cbranch_execz .LBB10_87
; %bb.85:                               ;   in Loop: Header=BB10_69 Depth=3
	s_add_i32 s38, s38, 3
	s_cmp_ge_i32 s38, s15
	s_cbranch_scc1 .LBB10_87
; %bb.86:                               ;   in Loop: Header=BB10_69 Depth=3
	flat_load_dwordx2 v[25:26], v[13:14] offset:24
	v_mov_b32_e32 v27, s37
	ds_read_b64 v[27:28], v27 offset:24
	s_waitcnt vmcnt(0) lgkmcnt(0)
	v_fma_f64 v[11:12], v[25:26], v[27:28], v[11:12]
.LBB10_87:                              ;   in Loop: Header=BB10_69 Depth=3
	s_andn2_saveexec_b64 s[30:31], s[30:31]
	s_cbranch_execz .LBB10_68
; %bb.88:                               ;   in Loop: Header=BB10_69 Depth=3
	v_mov_b32_e32 v25, s37
	ds_read_b64 v[25:26], v25 offset:24
	s_waitcnt lgkmcnt(0)
	v_add_f64 v[11:12], v[11:12], v[25:26]
	s_branch .LBB10_68
.LBB10_89:                              ;   in Loop: Header=BB10_48 Depth=1
	s_or_b64 exec, exec, s[4:5]
.LBB10_90:                              ;   in Loop: Header=BB10_48 Depth=1
	s_and_saveexec_b64 s[4:5], s[0:1]
	s_cbranch_execz .LBB10_47
; %bb.91:                               ;   in Loop: Header=BB10_48 Depth=1
	v_mad_u64_u32 v[9:10], s[0:1], s10, v18, 0
	v_mov_b32_e32 v1, v10
	v_mad_u64_u32 v[10:11], s[0:1], s11, v18, v[1:2]
	ds_read_b64 v[11:12], v15
	v_mov_b32_e32 v1, s58
	v_lshlrev_b64 v[9:10], 3, v[9:10]
	v_add_co_u32_e32 v9, vcc, s33, v9
	v_addc_co_u32_e32 v10, vcc, v1, v10, vcc
	s_waitcnt lgkmcnt(0)
	flat_store_dwordx2 v[9:10], v[11:12]
	s_branch .LBB10_47
.LBB10_92:
	s_mov_b64 s[0:1], 0
.LBB10_93:
	s_andn2_b64 vcc, exec, s[0:1]
	s_cbranch_vccnz .LBB10_159
; %bb.94:
	s_mov_b64 s[0:1], -1
	s_and_b64 vcc, exec, s[20:21]
	s_cbranch_vccz .LBB10_129
; %bb.95:
	s_andn2_b64 vcc, exec, s[8:9]
	s_cbranch_vccnz .LBB10_128
; %bb.96:
	s_lshl_b32 s20, s15, 1
	s_or_b32 s14, s20, 1
	s_ashr_i32 s21, s20, 31
	s_add_u32 s59, s16, s18
	s_addc_u32 s0, s17, s19
	v_mov_b32_e32 v17, s0
	s_lshl_b64 s[0:1], s[20:21], 9
	s_add_u32 s34, s0, 0xfffc0200
	s_addc_u32 s35, s1, -1
	s_add_u32 s28, s0, 0xfffbfe00
	s_addc_u32 s29, s1, -1
	s_lshl_b64 s[0:1], s[20:21], 1
	s_add_u32 s16, s0, -6
	v_lshlrev_b32_e32 v16, 3, v0
	s_addc_u32 s17, s1, -1
	v_add_co_u32_e32 v2, vcc, s59, v16
	s_add_u32 s18, s0, -2
	v_mov_b32_e32 v1, 0
	v_addc_co_u32_e32 v3, vcc, 0, v17, vcc
	v_or_b32_e32 v18, 0x200, v0
	s_addc_u32 s19, s1, -1
	s_mov_b64 s[22:23], -1
	s_mov_b64 s[24:25], 0
	v_mov_b32_e32 v19, s7
	s_mov_b64 s[26:27], 0
	s_mov_b64 s[30:31], s[20:21]
	;; [unrolled: 1-line block ×3, first 2 shown]
	s_branch .LBB10_98
.LBB10_97:                              ;   in Loop: Header=BB10_98 Depth=1
	s_or_b64 exec, exec, s[36:37]
	s_add_u32 s0, s34, 0xfff80000
	s_addc_u32 s1, s35, -1
	s_add_u32 s24, s24, s34
	s_addc_u32 s25, s25, s35
	s_add_u32 s30, s30, 0xfffffc00
	s_addc_u32 s31, s31, -1
	s_add_u32 s22, s22, 0xfffffe00
	s_addc_u32 s23, s23, -1
	;; [unrolled: 2-line block ×3, first 2 shown]
	s_add_u32 s20, s20, s28
	s_addc_u32 s21, s21, s29
	s_add_u32 s16, s16, 0xfffff800
	s_addc_u32 s17, s17, -1
	s_add_u32 s26, s26, 0xfffffe00
	s_addc_u32 s27, s27, -1
	s_add_u32 s18, s18, 0xfffff800
	v_add_u32_e32 v18, 0x200, v18
	s_addc_u32 s19, s19, -1
	s_and_b64 vcc, exec, s[4:5]
	s_mov_b64 s[28:29], s[34:35]
	s_mov_b64 s[34:35], s[0:1]
	s_mov_b64 s[36:37], s[2:3]
	s_waitcnt vmcnt(0) lgkmcnt(0)
	s_barrier
	s_cbranch_vccnz .LBB10_128
.LBB10_98:                              ; =>This Loop Header: Depth=1
                                        ;     Child Loop BB10_102 Depth 2
                                        ;     Child Loop BB10_111 Depth 2
                                        ;       Child Loop BB10_113 Depth 3
	v_add_u32_e32 v20, s36, v0
	v_cmp_le_i32_e32 vcc, s15, v20
	v_cmp_gt_i32_e64 s[0:1], s15, v20
	s_and_saveexec_b64 s[4:5], s[0:1]
	s_cbranch_execz .LBB10_100
; %bb.99:                               ;   in Loop: Header=BB10_98 Depth=1
	v_mad_u64_u32 v[4:5], s[2:3], s10, v20, 0
	v_mad_u64_u32 v[5:6], s[2:3], s11, v20, v[5:6]
	v_mov_b32_e32 v6, s58
	v_lshlrev_b64 v[4:5], 3, v[4:5]
	v_add_co_u32_e64 v4, s[2:3], s33, v4
	v_addc_co_u32_e64 v5, s[2:3], v6, v5, s[2:3]
	flat_load_dwordx2 v[4:5], v[4:5]
	s_waitcnt vmcnt(0) lgkmcnt(0)
	ds_write_b64 v16, v[4:5]
.LBB10_100:                             ;   in Loop: Header=BB10_98 Depth=1
	s_or_b64 exec, exec, s[4:5]
	v_or_b32_e32 v7, s36, v0
	v_sub_u32_e32 v6, s14, v7
	v_mad_u64_u32 v[4:5], s[2:3], v6, v7, 0
	v_ashrrev_i32_e32 v6, 31, v6
	s_mov_b32 s46, 0
	v_mad_u64_u32 v[5:6], s[2:3], v6, v7, v[5:6]
	v_cmp_le_i32_e64 s[2:3], s15, v7
	v_mov_b32_e32 v7, v3
	v_lshlrev_b64 v[4:5], 2, v[4:5]
	s_xor_b64 s[38:39], vcc, -1
	v_and_b32_e32 v4, -8, v4
	v_add_co_u32_e64 v4, s[4:5], s6, v4
	v_addc_co_u32_e64 v5, s[4:5], v19, v5, s[4:5]
	s_mov_b64 s[4:5], 0
	s_mov_b64 s[40:41], s[24:25]
	;; [unrolled: 1-line block ×3, first 2 shown]
	v_mov_b32_e32 v6, v2
	s_waitcnt lgkmcnt(0)
	s_barrier
	s_branch .LBB10_102
.LBB10_101:                             ;   in Loop: Header=BB10_102 Depth=2
	s_or_b64 exec, exec, s[44:45]
	s_add_u32 s4, s4, 1
	s_addc_u32 s5, s5, 0
	s_add_u32 s44, s42, -2
	s_addc_u32 s45, s43, -1
	s_add_u32 s40, s40, s42
	v_add_co_u32_e32 v6, vcc, -8, v6
	s_addc_u32 s41, s41, s43
	s_add_i32 s46, s46, 8
	v_addc_co_u32_e32 v7, vcc, -1, v7, vcc
	s_cmpk_eq_i32 s4, 0x200
	s_mov_b64 s[42:43], s[44:45]
	s_cbranch_scc1 .LBB10_107
.LBB10_102:                             ;   Parent Loop BB10_98 Depth=1
                                        ; =>  This Inner Loop Header: Depth=2
	v_cmp_ne_u32_e32 vcc, s4, v0
	s_or_b64 s[44:45], s[12:13], vcc
	s_nor_b64 s[48:49], s[44:45], s[2:3]
	s_and_saveexec_b64 s[44:45], s[48:49]
	s_cbranch_execz .LBB10_104
; %bb.103:                              ;   in Loop: Header=BB10_102 Depth=2
	flat_load_dwordx2 v[8:9], v[4:5]
	ds_read_b64 v[10:11], v16
	s_waitcnt vmcnt(0) lgkmcnt(0)
	v_div_scale_f64 v[12:13], s[48:49], v[8:9], v[8:9], v[10:11]
	v_div_scale_f64 v[23:24], vcc, v[10:11], v[8:9], v[10:11]
	v_rcp_f64_e32 v[14:15], v[12:13]
	v_fma_f64 v[21:22], -v[12:13], v[14:15], 1.0
	v_fma_f64 v[14:15], v[14:15], v[21:22], v[14:15]
	v_fma_f64 v[21:22], -v[12:13], v[14:15], 1.0
	v_fma_f64 v[14:15], v[14:15], v[21:22], v[14:15]
	v_mul_f64 v[21:22], v[23:24], v[14:15]
	v_fma_f64 v[12:13], -v[12:13], v[21:22], v[23:24]
	v_div_fmas_f64 v[12:13], v[12:13], v[14:15], v[21:22]
	v_div_fixup_f64 v[8:9], v[12:13], v[8:9], v[10:11]
	ds_write_b64 v16, v[8:9]
.LBB10_104:                             ;   in Loop: Header=BB10_102 Depth=2
	s_or_b64 exec, exec, s[44:45]
	v_cmp_lt_u32_e32 vcc, s4, v0
	s_waitcnt lgkmcnt(0)
	s_barrier
	s_and_saveexec_b64 s[44:45], vcc
	s_cbranch_execz .LBB10_101
; %bb.105:                              ;   in Loop: Header=BB10_102 Depth=2
	s_add_i32 s47, s36, s4
	s_cmp_lt_i32 s47, s15
	s_cselect_b64 s[48:49], -1, 0
	s_and_b64 s[48:49], s[38:39], s[48:49]
	s_and_b64 exec, exec, s[48:49]
	s_cbranch_execz .LBB10_101
; %bb.106:                              ;   in Loop: Header=BB10_102 Depth=2
	s_lshl_b64 s[48:49], s[40:41], 2
	s_and_b32 s47, s48, -8
	v_mov_b32_e32 v9, s49
	v_add_co_u32_e32 v8, vcc, s47, v6
	v_addc_co_u32_e32 v9, vcc, v7, v9, vcc
	flat_load_dwordx2 v[8:9], v[8:9]
	v_mov_b32_e32 v10, s46
	ds_read_b64 v[10:11], v10
	ds_read_b64 v[12:13], v16
	s_waitcnt vmcnt(0) lgkmcnt(0)
	v_fma_f64 v[8:9], -v[8:9], v[10:11], v[12:13]
	ds_write_b64 v16, v[8:9]
	s_branch .LBB10_101
.LBB10_107:                             ;   in Loop: Header=BB10_98 Depth=1
	s_add_u32 s2, s36, 0x200
	s_addc_u32 s3, s37, 0
	s_cmp_ge_i32 s2, s15
	s_cselect_b64 s[4:5], -1, 0
	s_and_b64 vcc, exec, s[4:5]
	s_waitcnt lgkmcnt(0)
	s_barrier
	s_cbranch_vccnz .LBB10_126
; %bb.108:                              ;   in Loop: Header=BB10_98 Depth=1
	v_ashrrev_i32_e32 v7, 31, v18
	v_mov_b32_e32 v5, s23
	v_add_co_u32_e32 v4, vcc, s22, v18
	v_addc_co_u32_e32 v5, vcc, v5, v7, vcc
	v_lshlrev_b64 v[4:5], 3, v[4:5]
	v_mov_b32_e32 v8, s27
	v_add_co_u32_e32 v4, vcc, s59, v4
	v_addc_co_u32_e32 v5, vcc, v17, v5, vcc
	v_add_co_u32_e32 v6, vcc, s26, v18
	v_addc_co_u32_e32 v7, vcc, v8, v7, vcc
	v_lshlrev_b64 v[6:7], 3, v[6:7]
	v_mov_b32_e32 v9, v1
	v_add_co_u32_e32 v6, vcc, s59, v6
	s_mov_b32 s37, s2
	v_addc_co_u32_e32 v7, vcc, v17, v7, vcc
	s_mov_b64 s[38:39], 0
	v_mov_b32_e32 v8, v0
                                        ; implicit-def: $sgpr40_sgpr41
	s_branch .LBB10_111
.LBB10_109:                             ;   in Loop: Header=BB10_111 Depth=2
	v_mad_u64_u32 v[12:13], s[44:45], s10, v21, 0
	s_addk_i32 s37, 0x200
	s_cmp_ge_i32 s37, s15
	v_mad_u64_u32 v[13:14], s[44:45], s11, v21, v[13:14]
	v_mov_b32_e32 v14, s58
	s_cselect_b64 s[44:45], -1, 0
	v_lshlrev_b64 v[12:13], 3, v[12:13]
	s_andn2_b64 s[40:41], s[40:41], exec
	v_add_co_u32_e32 v12, vcc, s33, v12
	v_addc_co_u32_e32 v13, vcc, v14, v13, vcc
	flat_load_dwordx2 v[14:15], v[12:13]
	v_add_co_u32_e32 v4, vcc, 0x1000, v4
	v_addc_co_u32_e32 v5, vcc, 0, v5, vcc
	v_add_co_u32_e32 v6, vcc, 0x1000, v6
	s_and_b64 s[44:45], s[44:45], exec
	v_addc_co_u32_e32 v7, vcc, 0, v7, vcc
	s_or_b64 s[40:41], s[40:41], s[44:45]
	s_waitcnt vmcnt(0) lgkmcnt(0)
	v_add_f64 v[10:11], v[14:15], -v[10:11]
	flat_store_dwordx2 v[12:13], v[10:11]
.LBB10_110:                             ;   in Loop: Header=BB10_111 Depth=2
	s_or_b64 exec, exec, s[42:43]
	s_and_b64 s[42:43], exec, s[40:41]
	s_or_b64 s[38:39], s[42:43], s[38:39]
	s_andn2_b64 exec, exec, s[38:39]
	s_cbranch_execz .LBB10_125
.LBB10_111:                             ;   Parent Loop BB10_98 Depth=1
                                        ; =>  This Loop Header: Depth=2
                                        ;       Child Loop BB10_113 Depth 3
	v_add_u32_e32 v21, s37, v0
	v_cmp_gt_i32_e32 vcc, s15, v21
	s_or_b64 s[40:41], s[40:41], exec
	s_and_saveexec_b64 s[42:43], vcc
	s_cbranch_execz .LBB10_110
; %bb.112:                              ;   in Loop: Header=BB10_111 Depth=2
	v_add_co_u32_e32 v22, vcc, 0x1ff, v8
	v_add_co_u32_e32 v8, vcc, 0x200, v8
	v_mov_b32_e32 v10, 0
	v_mov_b32_e32 v13, v7
	v_mov_b32_e32 v15, v5
	v_addc_co_u32_e32 v9, vcc, 0, v9, vcc
	v_mov_b32_e32 v11, 0
	s_mov_b64 s[44:45], 0
	s_mov_b32 s60, 0
	s_mov_b64 s[46:47], s[24:25]
	s_mov_b64 s[50:51], s[18:19]
	v_mov_b32_e32 v12, v6
	s_mov_b64 s[48:49], s[20:21]
	s_mov_b64 s[52:53], s[16:17]
	v_mov_b32_e32 v14, v4
.LBB10_113:                             ;   Parent Loop BB10_98 Depth=1
                                        ;     Parent Loop BB10_111 Depth=2
                                        ; =>    This Inner Loop Header: Depth=3
	v_cmp_ne_u32_e32 vcc, s44, v8
	s_xor_b64 s[54:55], s[12:13], -1
	s_add_u32 s61, s36, s44
	s_or_b64 s[56:57], s[54:55], vcc
	s_and_saveexec_b64 s[62:63], s[56:57]
	s_xor_b64 s[56:57], exec, s[62:63]
	s_cbranch_execz .LBB10_116
; %bb.114:                              ;   in Loop: Header=BB10_113 Depth=3
	s_cmp_ge_i32 s61, s15
	s_cbranch_scc1 .LBB10_116
; %bb.115:                              ;   in Loop: Header=BB10_113 Depth=3
	s_lshl_b64 s[62:63], s[46:47], 2
	s_and_b32 s62, s62, -8
	v_mov_b32_e32 v24, s63
	v_add_co_u32_e32 v23, vcc, s62, v12
	v_addc_co_u32_e32 v24, vcc, v13, v24, vcc
	flat_load_dwordx2 v[23:24], v[23:24]
	v_mov_b32_e32 v25, s60
	ds_read_b64 v[25:26], v25
	s_waitcnt vmcnt(0) lgkmcnt(0)
	v_fma_f64 v[10:11], v[23:24], v[25:26], v[10:11]
.LBB10_116:                             ;   in Loop: Header=BB10_113 Depth=3
	s_andn2_saveexec_b64 s[56:57], s[56:57]
	s_cbranch_execz .LBB10_118
; %bb.117:                              ;   in Loop: Header=BB10_113 Depth=3
	v_mov_b32_e32 v23, s60
	ds_read_b64 v[23:24], v23
	s_waitcnt lgkmcnt(0)
	v_add_f64 v[10:11], v[10:11], v[23:24]
.LBB10_118:                             ;   in Loop: Header=BB10_113 Depth=3
	s_or_b64 exec, exec, s[56:57]
	v_cmp_ne_u32_e32 vcc, s44, v22
	s_or_b64 s[54:55], s[54:55], vcc
	s_and_saveexec_b64 s[56:57], s[54:55]
	s_xor_b64 s[54:55], exec, s[56:57]
	s_cbranch_execz .LBB10_121
; %bb.119:                              ;   in Loop: Header=BB10_113 Depth=3
	s_add_i32 s61, s61, 1
	s_cmp_ge_i32 s61, s15
	s_cbranch_scc1 .LBB10_121
; %bb.120:                              ;   in Loop: Header=BB10_113 Depth=3
	s_lshl_b64 s[56:57], s[48:49], 2
	s_and_b32 s56, s56, -8
	v_mov_b32_e32 v24, s57
	v_add_co_u32_e32 v23, vcc, s56, v14
	v_addc_co_u32_e32 v24, vcc, v15, v24, vcc
	flat_load_dwordx2 v[23:24], v[23:24]
	v_mov_b32_e32 v25, s60
	ds_read_b64 v[25:26], v25 offset:8
	s_waitcnt vmcnt(0) lgkmcnt(0)
	v_fma_f64 v[10:11], v[23:24], v[25:26], v[10:11]
.LBB10_121:                             ;   in Loop: Header=BB10_113 Depth=3
	s_andn2_saveexec_b64 s[54:55], s[54:55]
	s_cbranch_execz .LBB10_123
; %bb.122:                              ;   in Loop: Header=BB10_113 Depth=3
	v_mov_b32_e32 v23, s60
	ds_read_b64 v[23:24], v23 offset:8
	s_waitcnt lgkmcnt(0)
	v_add_f64 v[10:11], v[10:11], v[23:24]
.LBB10_123:                             ;   in Loop: Header=BB10_113 Depth=3
	s_or_b64 exec, exec, s[54:55]
	s_add_u32 s44, s44, 2
	s_addc_u32 s45, s45, 0
	s_add_u32 s54, s52, -8
	s_addc_u32 s55, s53, -1
	s_add_u32 s48, s48, s52
	s_addc_u32 s49, s49, s53
	s_add_i32 s60, s60, 16
	s_add_u32 s52, s50, -8
	v_add_co_u32_e32 v14, vcc, -16, v14
	s_addc_u32 s53, s51, -1
	v_addc_co_u32_e32 v15, vcc, -1, v15, vcc
	s_add_u32 s46, s46, s50
	s_addc_u32 s47, s47, s51
	v_add_co_u32_e32 v12, vcc, -16, v12
	s_cmpk_eq_i32 s44, 0x200
	v_addc_co_u32_e32 v13, vcc, -1, v13, vcc
	s_cbranch_scc1 .LBB10_109
; %bb.124:                              ;   in Loop: Header=BB10_113 Depth=3
	s_mov_b64 s[50:51], s[52:53]
	s_mov_b64 s[52:53], s[54:55]
	s_branch .LBB10_113
.LBB10_125:                             ;   in Loop: Header=BB10_98 Depth=1
	s_or_b64 exec, exec, s[38:39]
.LBB10_126:                             ;   in Loop: Header=BB10_98 Depth=1
	s_and_saveexec_b64 s[36:37], s[0:1]
	s_cbranch_execz .LBB10_97
; %bb.127:                              ;   in Loop: Header=BB10_98 Depth=1
	v_mad_u64_u32 v[4:5], s[0:1], s10, v20, 0
	v_mov_b32_e32 v8, s58
	v_mad_u64_u32 v[5:6], s[0:1], s11, v20, v[5:6]
	ds_read_b64 v[6:7], v16
	v_lshlrev_b64 v[4:5], 3, v[4:5]
	v_add_co_u32_e32 v4, vcc, s33, v4
	v_addc_co_u32_e32 v5, vcc, v8, v5, vcc
	s_waitcnt lgkmcnt(0)
	flat_store_dwordx2 v[4:5], v[6:7]
	s_branch .LBB10_97
.LBB10_128:
	s_mov_b64 s[0:1], 0
.LBB10_129:
	s_andn2_b64 vcc, exec, s[0:1]
	s_cbranch_vccnz .LBB10_159
; %bb.130:
	s_andn2_b64 vcc, exec, s[8:9]
	s_cbranch_vccnz .LBB10_159
; %bb.131:
	v_mov_b32_e32 v1, 0x2000
	v_mov_b32_e32 v3, 0
	s_add_i32 s28, s15, 0xfffffe00
	v_lshl_or_b32 v15, v0, 3, v1
	s_mov_b32 s26, 0
	s_mov_b32 s27, s15
	v_mov_b32_e32 v1, v3
	v_mov_b32_e32 v16, s7
	s_xor_b64 s[4:5], s[12:13], -1
	s_branch .LBB10_133
.LBB10_132:                             ;   in Loop: Header=BB10_133 Depth=1
	s_or_b64 exec, exec, s[8:9]
	s_add_u32 s27, s27, 0xfffffe00
	s_addc_u32 s26, s26, -1
	s_and_b64 vcc, exec, s[2:3]
	s_mov_b32 s28, s7
	s_waitcnt vmcnt(0) lgkmcnt(0)
	s_barrier
	s_cbranch_vccnz .LBB10_159
.LBB10_133:                             ; =>This Loop Header: Depth=1
                                        ;     Child Loop BB10_137 Depth 2
                                        ;     Child Loop BB10_145 Depth 2
                                        ;       Child Loop BB10_148 Depth 3
	v_add_u32_e32 v4, s28, v0
	v_cmp_gt_i32_e32 vcc, 0, v4
	v_cmp_lt_i32_e64 s[0:1], -1, v4
	v_mov_b32_e32 v5, v3
	s_and_saveexec_b64 s[8:9], s[0:1]
	s_cbranch_execz .LBB10_135
; %bb.134:                              ;   in Loop: Header=BB10_133 Depth=1
	v_mad_u64_u32 v[6:7], s[2:3], s10, v4, 0
	v_mov_b32_e32 v2, v7
	v_mad_u64_u32 v[7:8], s[2:3], s11, v4, v[2:3]
	v_mov_b32_e32 v2, s58
	v_lshlrev_b64 v[6:7], 3, v[6:7]
	v_add_co_u32_e64 v6, s[2:3], s33, v6
	v_addc_co_u32_e64 v7, s[2:3], v2, v7, s[2:3]
	flat_load_dwordx2 v[6:7], v[6:7]
	s_waitcnt vmcnt(0) lgkmcnt(0)
	ds_write_b64 v15, v[6:7]
.LBB10_135:                             ;   in Loop: Header=BB10_133 Depth=1
	s_or_b64 exec, exec, s[8:9]
	v_add_u32_e32 v2, 1, v4
	v_mad_u64_u32 v[8:9], s[2:3], v4, v2, 0
	v_lshlrev_b64 v[10:11], 3, v[4:5]
	v_ashrrev_i32_e32 v7, 31, v4
	v_mov_b32_e32 v6, v4
	v_add_co_u32_e64 v10, s[2:3], s6, v10
	v_lshlrev_b64 v[5:6], 3, v[6:7]
	v_addc_co_u32_e64 v11, s[2:3], v16, v11, s[2:3]
	v_lshlrev_b64 v[8:9], 2, v[8:9]
	v_add_co_u32_e64 v2, s[2:3], s6, v5
	v_addc_co_u32_e64 v7, s[2:3], v16, v6, s[2:3]
	v_and_b32_e32 v5, -8, v8
	v_add_co_u32_e64 v5, s[2:3], v10, v5
	v_addc_co_u32_e64 v6, s[2:3], v11, v9, s[2:3]
	s_or_b64 s[2:3], s[12:13], vcc
	s_movk_i32 s7, 0x1ff
	s_movk_i32 s14, 0x2ff8
	s_xor_b64 s[8:9], s[2:3], -1
	s_waitcnt lgkmcnt(0)
	s_barrier
	s_branch .LBB10_137
.LBB10_136:                             ;   in Loop: Header=BB10_137 Depth=2
	s_or_b64 exec, exec, s[2:3]
	s_add_i32 s7, s7, -1
	s_add_i32 s14, s14, -8
	s_cmp_eq_u32 s7, -1
	s_cbranch_scc1 .LBB10_141
.LBB10_137:                             ;   Parent Loop BB10_133 Depth=1
                                        ; =>  This Inner Loop Header: Depth=2
	v_cmp_eq_u32_e32 vcc, s7, v0
	s_and_b64 s[16:17], vcc, s[8:9]
	s_and_saveexec_b64 s[2:3], s[16:17]
	s_cbranch_execz .LBB10_139
; %bb.138:                              ;   in Loop: Header=BB10_137 Depth=2
	flat_load_dwordx2 v[8:9], v[5:6]
	ds_read_b64 v[10:11], v15
	s_waitcnt vmcnt(0) lgkmcnt(0)
	v_div_scale_f64 v[12:13], s[16:17], v[8:9], v[8:9], v[10:11]
	v_div_scale_f64 v[21:22], vcc, v[10:11], v[8:9], v[10:11]
	v_rcp_f64_e32 v[17:18], v[12:13]
	v_fma_f64 v[19:20], -v[12:13], v[17:18], 1.0
	v_fma_f64 v[17:18], v[17:18], v[19:20], v[17:18]
	v_fma_f64 v[19:20], -v[12:13], v[17:18], 1.0
	v_fma_f64 v[17:18], v[17:18], v[19:20], v[17:18]
	v_mul_f64 v[19:20], v[21:22], v[17:18]
	v_fma_f64 v[12:13], -v[12:13], v[19:20], v[21:22]
	v_div_fmas_f64 v[12:13], v[12:13], v[17:18], v[19:20]
	v_div_fixup_f64 v[8:9], v[12:13], v[8:9], v[10:11]
	ds_write_b64 v15, v[8:9]
.LBB10_139:                             ;   in Loop: Header=BB10_137 Depth=2
	s_or_b64 exec, exec, s[2:3]
	s_add_i32 s16, s27, s7
	s_add_i32 s15, s16, 0xfffffe00
	v_or_b32_e32 v8, s15, v4
	v_cmp_gt_u32_e32 vcc, s7, v0
	v_cmp_lt_i32_e64 s[2:3], -1, v8
	s_and_b64 s[18:19], vcc, s[2:3]
	s_waitcnt lgkmcnt(0)
	s_barrier
	s_and_saveexec_b64 s[2:3], s[18:19]
	s_cbranch_execz .LBB10_136
; %bb.140:                              ;   in Loop: Header=BB10_137 Depth=2
	s_addk_i32 s16, 0xfe01
	s_mul_hi_u32 s17, s16, s15
	s_mul_i32 s16, s16, s15
	s_lshl_b64 s[16:17], s[16:17], 2
	s_and_b32 s15, s16, -8
	v_mov_b32_e32 v9, s17
	v_add_co_u32_e32 v8, vcc, s15, v2
	v_addc_co_u32_e32 v9, vcc, v7, v9, vcc
	flat_load_dwordx2 v[8:9], v[8:9]
	v_mov_b32_e32 v10, s14
	ds_read_b64 v[10:11], v10
	ds_read_b64 v[12:13], v15
	s_waitcnt vmcnt(0) lgkmcnt(0)
	v_fma_f64 v[8:9], -v[8:9], v[10:11], v[12:13]
	ds_write_b64 v15, v[8:9]
	s_branch .LBB10_136
.LBB10_141:                             ;   in Loop: Header=BB10_133 Depth=1
	s_add_i32 s7, s28, 0xfffffe00
	s_cmp_lt_i32 s28, 1
	s_cselect_b64 s[2:3], -1, 0
	s_and_b64 vcc, exec, s[2:3]
	s_waitcnt lgkmcnt(0)
	s_barrier
	s_cbranch_vccnz .LBB10_157
; %bb.142:                              ;   in Loop: Header=BB10_133 Depth=1
	v_mov_b32_e32 v6, v1
	s_mov_b64 s[8:9], 0
	v_mov_b32_e32 v5, v0
	s_mov_b32 s29, s7
                                        ; implicit-def: $sgpr14_sgpr15
	s_branch .LBB10_145
.LBB10_143:                             ;   in Loop: Header=BB10_145 Depth=2
	v_mad_u64_u32 v[9:10], s[18:19], s10, v2, 0
	s_add_i32 s20, s29, 0xfffffe00
	s_cmp_lt_i32 s29, 1
	v_mad_u64_u32 v[10:11], s[18:19], s11, v2, v[10:11]
	v_mov_b32_e32 v2, s58
	s_cselect_b64 s[18:19], -1, 0
	v_lshlrev_b64 v[9:10], 3, v[9:10]
	s_andn2_b64 s[14:15], s[14:15], exec
	v_add_co_u32_e32 v9, vcc, s33, v9
	v_addc_co_u32_e32 v10, vcc, v2, v10, vcc
	flat_load_dwordx2 v[11:12], v[9:10]
	v_add_co_u32_e32 v5, vcc, 0xfffffe00, v5
	s_and_b64 s[18:19], s[18:19], exec
	v_addc_co_u32_e32 v6, vcc, -1, v6, vcc
	s_or_b64 s[14:15], s[14:15], s[18:19]
	s_mov_b32 s29, s20
	s_waitcnt vmcnt(0) lgkmcnt(0)
	v_add_f64 v[7:8], v[11:12], -v[7:8]
	flat_store_dwordx2 v[9:10], v[7:8]
.LBB10_144:                             ;   in Loop: Header=BB10_145 Depth=2
	s_or_b64 exec, exec, s[16:17]
	s_and_b64 s[16:17], exec, s[14:15]
	s_or_b64 s[8:9], s[16:17], s[8:9]
	s_andn2_b64 exec, exec, s[8:9]
	s_cbranch_execz .LBB10_156
.LBB10_145:                             ;   Parent Loop BB10_133 Depth=1
                                        ; =>  This Loop Header: Depth=2
                                        ;       Child Loop BB10_148 Depth 3
	v_add_u32_e32 v2, s29, v0
	v_cmp_lt_i32_e32 vcc, -1, v2
	s_or_b64 s[14:15], s[14:15], exec
	s_and_saveexec_b64 s[16:17], vcc
	s_cbranch_execz .LBB10_144
; %bb.146:                              ;   in Loop: Header=BB10_145 Depth=2
	v_lshlrev_b64 v[7:8], 3, v[2:3]
	s_movk_i32 s30, 0x2000
	v_add_co_u32_e32 v17, vcc, s6, v7
	v_addc_co_u32_e32 v18, vcc, v16, v8, vcc
	v_mov_b32_e32 v7, 0
	v_add_co_u32_e32 v19, vcc, 0xfffffdff, v5
	v_add_co_u32_e32 v20, vcc, 0xfffffe00, v5
	v_mov_b32_e32 v8, 0
	s_mov_b64 s[18:19], 0
	s_branch .LBB10_148
.LBB10_147:                             ;   in Loop: Header=BB10_148 Depth=3
	s_or_b64 exec, exec, s[20:21]
	s_waitcnt lgkmcnt(0)
	v_add_f64 v[7:8], v[7:8], v[9:10]
	s_add_i32 s30, s30, 16
	s_add_u32 s18, s18, 2
	s_addc_u32 s19, s19, 0
	s_cmpk_eq_i32 s18, 0x200
	v_add_f64 v[7:8], v[7:8], v[13:14]
	s_cbranch_scc1 .LBB10_143
.LBB10_148:                             ;   Parent Loop BB10_133 Depth=1
                                        ;     Parent Loop BB10_145 Depth=2
                                        ; =>    This Inner Loop Header: Depth=3
	v_cmp_ne_u32_e32 vcc, s18, v20
	s_or_b64 s[24:25], s[4:5], vcc
                                        ; implicit-def: $vgpr9_vgpr10
                                        ; implicit-def: $sgpr20_sgpr21
                                        ; implicit-def: $sgpr22_sgpr23
	s_and_saveexec_b64 s[34:35], s[24:25]
	s_xor_b64 s[24:25], exec, s[34:35]
	s_cbranch_execz .LBB10_150
; %bb.149:                              ;   in Loop: Header=BB10_148 Depth=3
	s_add_u32 s20, s27, s18
	s_addc_u32 s21, s26, s19
	s_add_u32 s22, s20, 0xfffffe01
	s_addc_u32 s23, s21, 0
	;; [unrolled: 2-line block ×3, first 2 shown]
	s_mul_i32 s34, s22, s34
	s_mul_hi_u32 s35, s22, s31
	s_add_i32 s35, s35, s34
	s_mul_i32 s34, s22, s31
	s_lshl_b64 s[34:35], s[34:35], 2
	s_and_b32 s31, s34, -8
	v_mov_b32_e32 v10, s35
	v_add_co_u32_e32 v9, vcc, s31, v17
	v_addc_co_u32_e32 v10, vcc, v18, v10, vcc
	flat_load_dwordx2 v[9:10], v[9:10]
	v_mov_b32_e32 v11, s30
	ds_read_b64 v[11:12], v11
	s_waitcnt vmcnt(0) lgkmcnt(0)
	v_mul_f64 v[9:10], v[9:10], v[11:12]
.LBB10_150:                             ;   in Loop: Header=BB10_148 Depth=3
	s_or_saveexec_b64 s[24:25], s[24:25]
	v_mov_b32_e32 v11, s22
	v_mov_b32_e32 v12, s23
	;; [unrolled: 1-line block ×4, first 2 shown]
	s_xor_b64 exec, exec, s[24:25]
	s_cbranch_execz .LBB10_152
; %bb.151:                              ;   in Loop: Header=BB10_148 Depth=3
	v_mov_b32_e32 v9, s30
	s_add_u32 s20, s27, s18
	ds_read_b64 v[9:10], v9
	s_addc_u32 s21, s26, s19
	s_add_u32 s22, s20, 0xfffffe01
	s_addc_u32 s23, s21, 0
	v_mov_b32_e32 v11, s22
	v_mov_b32_e32 v12, s23
	;; [unrolled: 1-line block ×4, first 2 shown]
.LBB10_152:                             ;   in Loop: Header=BB10_148 Depth=3
	s_or_b64 exec, exec, s[24:25]
	v_cmp_ne_u32_e32 vcc, s18, v19
	s_or_b64 s[20:21], s[4:5], vcc
                                        ; implicit-def: $vgpr13_vgpr14
	s_and_saveexec_b64 s[22:23], s[20:21]
	s_xor_b64 s[20:21], exec, s[22:23]
	s_cbranch_execz .LBB10_154
; %bb.153:                              ;   in Loop: Header=BB10_148 Depth=3
	v_add_u32_e32 v12, 0xfffffe02, v12
	v_mad_u64_u32 v[11:12], s[22:23], v12, v11, 0
	v_mov_b32_e32 v13, s30
	ds_read_b64 v[13:14], v13 offset:8
	v_lshlrev_b64 v[11:12], 2, v[11:12]
	v_and_b32_e32 v11, -8, v11
	v_add_co_u32_e32 v11, vcc, v17, v11
	v_addc_co_u32_e32 v12, vcc, v18, v12, vcc
	flat_load_dwordx2 v[11:12], v[11:12]
	s_waitcnt vmcnt(0) lgkmcnt(0)
	v_mul_f64 v[13:14], v[11:12], v[13:14]
.LBB10_154:                             ;   in Loop: Header=BB10_148 Depth=3
	s_andn2_saveexec_b64 s[20:21], s[20:21]
	s_cbranch_execz .LBB10_147
; %bb.155:                              ;   in Loop: Header=BB10_148 Depth=3
	v_mov_b32_e32 v11, s30
	ds_read_b64 v[13:14], v11 offset:8
	s_branch .LBB10_147
.LBB10_156:                             ;   in Loop: Header=BB10_133 Depth=1
	s_or_b64 exec, exec, s[8:9]
.LBB10_157:                             ;   in Loop: Header=BB10_133 Depth=1
	s_and_saveexec_b64 s[8:9], s[0:1]
	s_cbranch_execz .LBB10_132
; %bb.158:                              ;   in Loop: Header=BB10_133 Depth=1
	v_mad_u64_u32 v[5:6], s[0:1], s10, v4, 0
	v_mov_b32_e32 v2, v6
	v_mad_u64_u32 v[6:7], s[0:1], s11, v4, v[2:3]
	ds_read_b64 v[7:8], v15
	v_mov_b32_e32 v2, s58
	v_lshlrev_b64 v[4:5], 3, v[5:6]
	v_add_co_u32_e32 v4, vcc, s33, v4
	v_addc_co_u32_e32 v5, vcc, v2, v5, vcc
	s_waitcnt lgkmcnt(0)
	flat_store_dwordx2 v[4:5], v[7:8]
	s_branch .LBB10_132
.LBB10_159:
	s_endpgm
	.section	.rodata,"a",@progbits
	.p2align	6, 0x0
	.amdhsa_kernel _ZL19rocblas_tpsv_kernelILb1ELi512EPKPKdPKPdEv18rocblas_operation_bbiT1_llT2_lll
		.amdhsa_group_segment_fixed_size 16384
		.amdhsa_private_segment_fixed_size 0
		.amdhsa_kernarg_size 72
		.amdhsa_user_sgpr_count 6
		.amdhsa_user_sgpr_private_segment_buffer 1
		.amdhsa_user_sgpr_dispatch_ptr 0
		.amdhsa_user_sgpr_queue_ptr 0
		.amdhsa_user_sgpr_kernarg_segment_ptr 1
		.amdhsa_user_sgpr_dispatch_id 0
		.amdhsa_user_sgpr_flat_scratch_init 0
		.amdhsa_user_sgpr_private_segment_size 0
		.amdhsa_uses_dynamic_stack 0
		.amdhsa_system_sgpr_private_segment_wavefront_offset 0
		.amdhsa_system_sgpr_workgroup_id_x 1
		.amdhsa_system_sgpr_workgroup_id_y 0
		.amdhsa_system_sgpr_workgroup_id_z 0
		.amdhsa_system_sgpr_workgroup_info 0
		.amdhsa_system_vgpr_workitem_id 0
		.amdhsa_next_free_vgpr 30
		.amdhsa_next_free_sgpr 64
		.amdhsa_reserve_vcc 1
		.amdhsa_reserve_flat_scratch 0
		.amdhsa_float_round_mode_32 0
		.amdhsa_float_round_mode_16_64 0
		.amdhsa_float_denorm_mode_32 3
		.amdhsa_float_denorm_mode_16_64 3
		.amdhsa_dx10_clamp 1
		.amdhsa_ieee_mode 1
		.amdhsa_fp16_overflow 0
		.amdhsa_exception_fp_ieee_invalid_op 0
		.amdhsa_exception_fp_denorm_src 0
		.amdhsa_exception_fp_ieee_div_zero 0
		.amdhsa_exception_fp_ieee_overflow 0
		.amdhsa_exception_fp_ieee_underflow 0
		.amdhsa_exception_fp_ieee_inexact 0
		.amdhsa_exception_int_div_zero 0
	.end_amdhsa_kernel
	.section	.text._ZL19rocblas_tpsv_kernelILb1ELi512EPKPKdPKPdEv18rocblas_operation_bbiT1_llT2_lll,"axG",@progbits,_ZL19rocblas_tpsv_kernelILb1ELi512EPKPKdPKPdEv18rocblas_operation_bbiT1_llT2_lll,comdat
.Lfunc_end10:
	.size	_ZL19rocblas_tpsv_kernelILb1ELi512EPKPKdPKPdEv18rocblas_operation_bbiT1_llT2_lll, .Lfunc_end10-_ZL19rocblas_tpsv_kernelILb1ELi512EPKPKdPKPdEv18rocblas_operation_bbiT1_llT2_lll
                                        ; -- End function
	.set _ZL19rocblas_tpsv_kernelILb1ELi512EPKPKdPKPdEv18rocblas_operation_bbiT1_llT2_lll.num_vgpr, 30
	.set _ZL19rocblas_tpsv_kernelILb1ELi512EPKPKdPKPdEv18rocblas_operation_bbiT1_llT2_lll.num_agpr, 0
	.set _ZL19rocblas_tpsv_kernelILb1ELi512EPKPKdPKPdEv18rocblas_operation_bbiT1_llT2_lll.numbered_sgpr, 64
	.set _ZL19rocblas_tpsv_kernelILb1ELi512EPKPKdPKPdEv18rocblas_operation_bbiT1_llT2_lll.num_named_barrier, 0
	.set _ZL19rocblas_tpsv_kernelILb1ELi512EPKPKdPKPdEv18rocblas_operation_bbiT1_llT2_lll.private_seg_size, 0
	.set _ZL19rocblas_tpsv_kernelILb1ELi512EPKPKdPKPdEv18rocblas_operation_bbiT1_llT2_lll.uses_vcc, 1
	.set _ZL19rocblas_tpsv_kernelILb1ELi512EPKPKdPKPdEv18rocblas_operation_bbiT1_llT2_lll.uses_flat_scratch, 0
	.set _ZL19rocblas_tpsv_kernelILb1ELi512EPKPKdPKPdEv18rocblas_operation_bbiT1_llT2_lll.has_dyn_sized_stack, 0
	.set _ZL19rocblas_tpsv_kernelILb1ELi512EPKPKdPKPdEv18rocblas_operation_bbiT1_llT2_lll.has_recursion, 0
	.set _ZL19rocblas_tpsv_kernelILb1ELi512EPKPKdPKPdEv18rocblas_operation_bbiT1_llT2_lll.has_indirect_call, 0
	.section	.AMDGPU.csdata,"",@progbits
; Kernel info:
; codeLenInByte = 6404
; TotalNumSgprs: 68
; NumVgprs: 30
; ScratchSize: 0
; MemoryBound: 0
; FloatMode: 240
; IeeeMode: 1
; LDSByteSize: 16384 bytes/workgroup (compile time only)
; SGPRBlocks: 8
; VGPRBlocks: 7
; NumSGPRsForWavesPerEU: 68
; NumVGPRsForWavesPerEU: 30
; Occupancy: 8
; WaveLimiterHint : 1
; COMPUTE_PGM_RSRC2:SCRATCH_EN: 0
; COMPUTE_PGM_RSRC2:USER_SGPR: 6
; COMPUTE_PGM_RSRC2:TRAP_HANDLER: 0
; COMPUTE_PGM_RSRC2:TGID_X_EN: 1
; COMPUTE_PGM_RSRC2:TGID_Y_EN: 0
; COMPUTE_PGM_RSRC2:TGID_Z_EN: 0
; COMPUTE_PGM_RSRC2:TIDIG_COMP_CNT: 0
	.section	.text._ZL19rocblas_tpsv_kernelILb0ELi512EPKPKdPKPdEv18rocblas_operation_bbiT1_llT2_lll,"axG",@progbits,_ZL19rocblas_tpsv_kernelILb0ELi512EPKPKdPKPdEv18rocblas_operation_bbiT1_llT2_lll,comdat
	.globl	_ZL19rocblas_tpsv_kernelILb0ELi512EPKPKdPKPdEv18rocblas_operation_bbiT1_llT2_lll ; -- Begin function _ZL19rocblas_tpsv_kernelILb0ELi512EPKPKdPKPdEv18rocblas_operation_bbiT1_llT2_lll
	.p2align	8
	.type	_ZL19rocblas_tpsv_kernelILb0ELi512EPKPKdPKPdEv18rocblas_operation_bbiT1_llT2_lll,@function
_ZL19rocblas_tpsv_kernelILb0ELi512EPKPKdPKPdEv18rocblas_operation_bbiT1_llT2_lll: ; @_ZL19rocblas_tpsv_kernelILb0ELi512EPKPKdPKPdEv18rocblas_operation_bbiT1_llT2_lll
; %bb.0:
	s_load_dwordx2 s[22:23], s[4:5], 0x0
	s_load_dwordx2 s[14:15], s[4:5], 0x4
	s_load_dwordx4 s[0:3], s[4:5], 0x10
	s_load_dwordx2 s[24:25], s[4:5], 0x28
	s_mov_b32 s7, 0
	s_waitcnt lgkmcnt(0)
	s_bitcmp1_b32 s23, 0
	s_cselect_b64 s[8:9], -1, 0
	s_xor_b64 s[20:21], s[8:9], -1
	s_bitcmp1_b32 s14, 8
	s_cselect_b64 s[12:13], -1, 0
	s_lshl_b64 s[26:27], s[6:7], 3
	s_add_u32 s0, s0, s26
	s_addc_u32 s1, s1, s27
	s_load_dwordx2 s[16:17], s[0:1], 0x0
	s_load_dwordx4 s[8:11], s[4:5], 0x30
	s_lshl_b64 s[18:19], s[2:3], 3
	s_waitcnt lgkmcnt(0)
	s_add_u32 s6, s16, s18
	s_addc_u32 s7, s17, s19
	s_add_u32 s0, s24, s26
	s_addc_u32 s1, s25, s27
	s_load_dwordx2 s[0:1], s[0:1], 0x0
	s_lshl_b64 s[2:3], s[8:9], 3
	s_waitcnt lgkmcnt(0)
	s_add_u32 s33, s0, s2
	s_addc_u32 s58, s1, s3
	s_cmp_gt_i32 s15, 0
	s_cselect_b64 s[8:9], -1, 0
	s_cmpk_lg_i32 s22, 0x6f
	s_mov_b64 s[0:1], -1
	s_cbranch_scc0 .LBB11_93
; %bb.1:
	s_and_b64 vcc, exec, s[20:21]
	s_cbranch_vccz .LBB11_44
; %bb.2:
	s_andn2_b64 vcc, exec, s[8:9]
	s_cbranch_vccnz .LBB11_43
; %bb.3:
	s_lshl_b32 s2, s15, 1
	s_ashr_i32 s1, s15, 31
	s_mov_b32 s0, s15
	s_add_i32 s28, s15, 0xfffffe00
	s_or_b32 s14, s2, 1
	s_lshl_b64 s[0:1], s[0:1], 3
	s_add_u32 s0, s18, s0
	s_addc_u32 s1, s19, s1
	s_add_u32 s0, s16, s0
	v_mov_b32_e32 v1, 0x1000
	s_addc_u32 s1, s17, s1
	v_lshl_or_b32 v17, v0, 3, v1
	s_add_u32 s4, s0, 0xfffff000
	v_add_u32_e32 v1, s15, v0
	v_xor_b32_e32 v18, 0x1ff, v0
	s_addc_u32 s5, s1, -1
	v_add_u32_e32 v19, 0xfffffc00, v1
	s_ashr_i32 s34, s2, 31
	v_mov_b32_e32 v2, 0
	v_mov_b32_e32 v20, s7
	s_movk_i32 s35, 0x400
	s_movk_i32 s36, 0x401
	;; [unrolled: 1-line block ×4, first 2 shown]
	s_xor_b64 s[22:23], s[12:13], -1
	s_movk_i32 s39, 0x1000
	s_branch .LBB11_5
.LBB11_4:                               ;   in Loop: Header=BB11_5 Depth=1
	s_or_b64 exec, exec, s[24:25]
	s_add_u32 s4, s4, 0xfffff000
	s_addc_u32 s5, s5, -1
	v_add_u32_e32 v19, 0xfffffe00, v19
	s_andn2_b64 vcc, exec, s[2:3]
	s_mov_b32 s28, s40
	s_waitcnt vmcnt(0) lgkmcnt(0)
	s_barrier
	s_cbranch_vccz .LBB11_43
.LBB11_5:                               ; =>This Loop Header: Depth=1
                                        ;     Child Loop BB11_9 Depth 2
                                        ;     Child Loop BB11_21 Depth 2
                                        ;       Child Loop BB11_24 Depth 3
	v_add_u32_e32 v21, s28, v0
	v_cmp_gt_i32_e64 s[2:3], 0, v21
	v_cmp_lt_i32_e64 s[0:1], -1, v21
	s_and_saveexec_b64 s[24:25], s[0:1]
	s_cbranch_execz .LBB11_7
; %bb.6:                                ;   in Loop: Header=BB11_5 Depth=1
	v_mad_u64_u32 v[3:4], s[26:27], s10, v21, 0
	v_mov_b32_e32 v1, v4
	v_mad_u64_u32 v[4:5], s[26:27], s11, v21, v[1:2]
	v_mov_b32_e32 v1, s58
	v_lshlrev_b64 v[3:4], 3, v[3:4]
	v_add_co_u32_e32 v3, vcc, s33, v3
	v_addc_co_u32_e32 v4, vcc, v1, v4, vcc
	flat_load_dwordx2 v[3:4], v[3:4]
	s_waitcnt vmcnt(0) lgkmcnt(0)
	ds_write_b64 v17, v[3:4]
.LBB11_7:                               ;   in Loop: Header=BB11_5 Depth=1
	s_or_b64 exec, exec, s[24:25]
	v_sub_u32_e32 v1, s14, v21
	v_mad_u64_u32 v[3:4], s[24:25], v21, v1, 0
	v_ashrrev_i32_e32 v5, 31, v1
	s_not_b32 s29, s28
	v_mov_b32_e32 v1, v4
	v_mad_u64_u32 v[4:5], s[24:25], v21, v5, v[1:2]
	s_or_b64 s[24:25], s[12:13], s[2:3]
	s_movk_i32 s30, 0x1ff
	v_lshlrev_b64 v[3:4], 2, v[3:4]
	s_movk_i32 s31, 0x1ff0
	v_and_b32_e32 v1, -8, v3
	v_add_co_u32_e32 v3, vcc, s6, v1
	v_addc_co_u32_e32 v4, vcc, v20, v4, vcc
	s_xor_b64 s[24:25], s[24:25], -1
	v_mov_b32_e32 v1, v18
	s_waitcnt lgkmcnt(0)
	s_barrier
	s_branch .LBB11_9
.LBB11_8:                               ;   in Loop: Header=BB11_9 Depth=2
	s_or_b64 exec, exec, s[26:27]
	s_add_i32 s30, s30, -2
	s_add_i32 s31, s31, -16
	s_cmp_eq_u32 s40, 0
	v_add_u32_e32 v1, -2, v1
	s_cbranch_scc1 .LBB11_17
.LBB11_9:                               ;   Parent Loop BB11_5 Depth=1
                                        ; =>  This Inner Loop Header: Depth=2
	v_cmp_eq_u32_e32 vcc, 0, v1
	s_and_b64 s[40:41], vcc, s[24:25]
	s_and_saveexec_b64 s[26:27], s[40:41]
	s_cbranch_execz .LBB11_11
; %bb.10:                               ;   in Loop: Header=BB11_9 Depth=2
	flat_load_dwordx2 v[5:6], v[3:4]
	ds_read_b64 v[7:8], v17
	s_waitcnt vmcnt(0) lgkmcnt(0)
	v_div_scale_f64 v[9:10], s[40:41], v[5:6], v[5:6], v[7:8]
	v_div_scale_f64 v[15:16], vcc, v[7:8], v[5:6], v[7:8]
	v_rcp_f64_e32 v[11:12], v[9:10]
	v_fma_f64 v[13:14], -v[9:10], v[11:12], 1.0
	v_fma_f64 v[11:12], v[11:12], v[13:14], v[11:12]
	v_fma_f64 v[13:14], -v[9:10], v[11:12], 1.0
	v_fma_f64 v[11:12], v[11:12], v[13:14], v[11:12]
	v_mul_f64 v[13:14], v[15:16], v[11:12]
	v_fma_f64 v[9:10], -v[9:10], v[13:14], v[15:16]
	v_div_fmas_f64 v[9:10], v[9:10], v[11:12], v[13:14]
	v_div_fixup_f64 v[5:6], v[9:10], v[5:6], v[7:8]
	ds_write_b64 v17, v[5:6]
.LBB11_11:                              ;   in Loop: Header=BB11_9 Depth=2
	s_or_b64 exec, exec, s[26:27]
	s_cmp_le_i32 s30, s29
	v_cmp_le_u32_e32 vcc, s30, v0
	s_cselect_b64 s[26:27], -1, 0
	s_or_b64 s[26:27], vcc, s[26:27]
	s_nor_b64 s[40:41], s[2:3], s[26:27]
	s_waitcnt lgkmcnt(0)
	s_barrier
	s_and_saveexec_b64 s[26:27], s[40:41]
	s_cbranch_execz .LBB11_13
; %bb.12:                               ;   in Loop: Header=BB11_9 Depth=2
	v_lshlrev_b64 v[5:6], 3, v[1:2]
	v_mov_b32_e32 v7, s31
	v_add_co_u32_e32 v5, vcc, v3, v5
	v_addc_co_u32_e32 v6, vcc, v4, v6, vcc
	flat_load_dwordx2 v[5:6], v[5:6]
	ds_read_b64 v[7:8], v7 offset:8
	ds_read_b64 v[9:10], v17
	s_waitcnt vmcnt(0) lgkmcnt(0)
	v_fma_f64 v[5:6], -v[5:6], v[7:8], v[9:10]
	ds_write_b64 v17, v[5:6]
.LBB11_13:                              ;   in Loop: Header=BB11_9 Depth=2
	s_or_b64 exec, exec, s[26:27]
	s_add_i32 s40, s30, -1
	v_cmp_eq_u32_e32 vcc, s40, v0
	s_and_b64 s[42:43], vcc, s[24:25]
	s_and_saveexec_b64 s[26:27], s[42:43]
	s_cbranch_execz .LBB11_15
; %bb.14:                               ;   in Loop: Header=BB11_9 Depth=2
	flat_load_dwordx2 v[5:6], v[3:4]
	ds_read_b64 v[7:8], v17
	s_waitcnt vmcnt(0) lgkmcnt(0)
	v_div_scale_f64 v[9:10], s[42:43], v[5:6], v[5:6], v[7:8]
	v_div_scale_f64 v[15:16], vcc, v[7:8], v[5:6], v[7:8]
	v_rcp_f64_e32 v[11:12], v[9:10]
	v_fma_f64 v[13:14], -v[9:10], v[11:12], 1.0
	v_fma_f64 v[11:12], v[11:12], v[13:14], v[11:12]
	v_fma_f64 v[13:14], -v[9:10], v[11:12], 1.0
	v_fma_f64 v[11:12], v[11:12], v[13:14], v[11:12]
	v_mul_f64 v[13:14], v[15:16], v[11:12]
	v_fma_f64 v[9:10], -v[9:10], v[13:14], v[15:16]
	v_div_fmas_f64 v[9:10], v[9:10], v[11:12], v[13:14]
	v_div_fixup_f64 v[5:6], v[9:10], v[5:6], v[7:8]
	ds_write_b64 v17, v[5:6]
.LBB11_15:                              ;   in Loop: Header=BB11_9 Depth=2
	s_or_b64 exec, exec, s[26:27]
	s_cmp_le_i32 s40, s29
	v_cmp_le_u32_e32 vcc, s40, v0
	s_cselect_b64 s[26:27], -1, 0
	s_or_b64 s[26:27], vcc, s[26:27]
	s_nor_b64 s[42:43], s[2:3], s[26:27]
	s_waitcnt lgkmcnt(0)
	s_barrier
	s_and_saveexec_b64 s[26:27], s[42:43]
	s_cbranch_execz .LBB11_8
; %bb.16:                               ;   in Loop: Header=BB11_9 Depth=2
	v_add_u32_e32 v5, -1, v1
	v_mov_b32_e32 v6, v2
	v_lshlrev_b64 v[5:6], 3, v[5:6]
	v_mov_b32_e32 v7, s31
	v_add_co_u32_e32 v5, vcc, v3, v5
	v_addc_co_u32_e32 v6, vcc, v4, v6, vcc
	flat_load_dwordx2 v[5:6], v[5:6]
	ds_read_b64 v[7:8], v7
	ds_read_b64 v[9:10], v17
	s_waitcnt vmcnt(0) lgkmcnt(0)
	v_fma_f64 v[5:6], -v[5:6], v[7:8], v[9:10]
	ds_write_b64 v17, v[5:6]
	s_branch .LBB11_8
.LBB11_17:                              ;   in Loop: Header=BB11_5 Depth=1
	s_add_i32 s40, s28, 0xfffffe00
	s_cmp_lt_i32 s28, 1
	s_cselect_b64 s[2:3], -1, 0
	s_and_b64 vcc, exec, s[2:3]
	s_waitcnt lgkmcnt(0)
	s_barrier
	s_cbranch_vccnz .LBB11_41
; %bb.18:                               ;   in Loop: Header=BB11_5 Depth=1
	v_mad_i64_i32 v[3:4], s[24:25], v19, -8, s[4:5]
	v_ashrrev_i32_e32 v5, 31, v19
	v_mov_b32_e32 v6, s34
	v_sub_co_u32_e32 v1, vcc, s14, v19
	v_subb_co_u32_e32 v22, vcc, v6, v5, vcc
	s_mov_b64 s[24:25], 0
	v_mov_b32_e32 v23, v19
	v_mov_b32_e32 v24, v0
	s_mov_b32 s41, s40
                                        ; implicit-def: $sgpr26_sgpr27
	s_branch .LBB11_21
.LBB11_19:                              ;   in Loop: Header=BB11_21 Depth=2
	v_mad_u64_u32 v[7:8], s[30:31], s10, v25, 0
	s_add_i32 s42, s41, 0xfffffe00
	s_cmp_lt_i32 s41, 1
	v_mad_u64_u32 v[8:9], s[30:31], s11, v25, v[8:9]
	v_mov_b32_e32 v9, s58
	s_cselect_b64 s[30:31], -1, 0
	v_lshlrev_b64 v[7:8], 3, v[7:8]
	s_andn2_b64 s[26:27], s[26:27], exec
	v_add_co_u32_e32 v7, vcc, s33, v7
	v_addc_co_u32_e32 v8, vcc, v9, v8, vcc
	flat_load_dwordx2 v[9:10], v[7:8]
	v_add_co_u32_e32 v3, vcc, s39, v3
	v_addc_co_u32_e32 v4, vcc, 0, v4, vcc
	v_add_co_u32_e32 v1, vcc, 0x200, v1
	s_and_b64 s[30:31], s[30:31], exec
	v_add_u32_e32 v24, 0xfffffe00, v24
	v_add_u32_e32 v23, 0xfffffe00, v23
	v_addc_co_u32_e32 v22, vcc, 0, v22, vcc
	s_or_b64 s[26:27], s[26:27], s[30:31]
	s_mov_b32 s41, s42
	s_waitcnt vmcnt(0) lgkmcnt(0)
	v_add_f64 v[5:6], v[9:10], -v[5:6]
	flat_store_dwordx2 v[7:8], v[5:6]
.LBB11_20:                              ;   in Loop: Header=BB11_21 Depth=2
	s_or_b64 exec, exec, s[28:29]
	s_and_b64 s[28:29], exec, s[26:27]
	s_or_b64 s[24:25], s[28:29], s[24:25]
	s_andn2_b64 exec, exec, s[24:25]
	s_cbranch_execz .LBB11_40
.LBB11_21:                              ;   Parent Loop BB11_5 Depth=1
                                        ; =>  This Loop Header: Depth=2
                                        ;       Child Loop BB11_24 Depth 3
	v_add_u32_e32 v25, s41, v0
	v_cmp_lt_i32_e32 vcc, -1, v25
	s_or_b64 s[26:27], s[26:27], exec
	s_and_saveexec_b64 s[28:29], vcc
	s_cbranch_execz .LBB11_20
; %bb.22:                               ;   in Loop: Header=BB11_21 Depth=2
	v_mad_u64_u32 v[7:8], s[30:31], v1, v23, 0
	s_movk_i32 s42, 0x1000
	s_movk_i32 s43, 0x200
	v_mov_b32_e32 v5, v8
	v_mad_u64_u32 v[8:9], s[30:31], v22, v23, v[5:6]
	v_mov_b32_e32 v5, 0
	v_mov_b32_e32 v6, 0
	v_lshlrev_b64 v[7:8], 2, v[7:8]
	v_and_b32_e32 v7, -8, v7
	v_add_co_u32_e32 v7, vcc, v3, v7
	v_addc_co_u32_e32 v8, vcc, v4, v8, vcc
	s_branch .LBB11_24
.LBB11_23:                              ;   in Loop: Header=BB11_24 Depth=3
	s_or_b64 exec, exec, s[30:31]
	s_waitcnt lgkmcnt(0)
	v_add_f64 v[5:6], v[5:6], v[9:10]
	s_add_i32 s42, s42, 32
	s_add_i32 s43, s43, -4
	v_add_co_u32_e32 v7, vcc, 32, v7
	s_cmp_eq_u32 s43, 0
	v_addc_co_u32_e32 v8, vcc, 0, v8, vcc
	v_add_f64 v[5:6], v[5:6], v[11:12]
	v_add_f64 v[5:6], v[5:6], v[13:14]
	;; [unrolled: 1-line block ×3, first 2 shown]
	s_cbranch_scc1 .LBB11_19
.LBB11_24:                              ;   Parent Loop BB11_5 Depth=1
                                        ;     Parent Loop BB11_21 Depth=2
                                        ; =>    This Inner Loop Header: Depth=3
	v_add_u32_e32 v15, s43, v24
	v_cmp_ne_u32_e32 vcc, s35, v15
	s_or_b64 s[30:31], s[22:23], vcc
                                        ; implicit-def: $vgpr9_vgpr10
	s_and_saveexec_b64 s[44:45], s[30:31]
	s_xor_b64 s[30:31], exec, s[44:45]
	s_cbranch_execz .LBB11_26
; %bb.25:                               ;   in Loop: Header=BB11_24 Depth=3
	flat_load_dwordx2 v[9:10], v[7:8]
	v_mov_b32_e32 v11, s42
	ds_read_b64 v[11:12], v11
	s_waitcnt vmcnt(0) lgkmcnt(0)
	v_mul_f64 v[9:10], v[9:10], v[11:12]
.LBB11_26:                              ;   in Loop: Header=BB11_24 Depth=3
	s_andn2_saveexec_b64 s[30:31], s[30:31]
; %bb.27:                               ;   in Loop: Header=BB11_24 Depth=3
	v_mov_b32_e32 v9, s42
	ds_read_b64 v[9:10], v9
; %bb.28:                               ;   in Loop: Header=BB11_24 Depth=3
	s_or_b64 exec, exec, s[30:31]
	v_cmp_ne_u32_e32 vcc, s36, v15
	s_or_b64 s[30:31], s[22:23], vcc
                                        ; implicit-def: $vgpr11_vgpr12
	s_and_saveexec_b64 s[44:45], s[30:31]
	s_xor_b64 s[30:31], exec, s[44:45]
	s_cbranch_execz .LBB11_30
; %bb.29:                               ;   in Loop: Header=BB11_24 Depth=3
	flat_load_dwordx2 v[11:12], v[7:8] offset:8
	v_mov_b32_e32 v13, s42
	ds_read_b64 v[13:14], v13 offset:8
	s_waitcnt vmcnt(0) lgkmcnt(0)
	v_mul_f64 v[11:12], v[11:12], v[13:14]
.LBB11_30:                              ;   in Loop: Header=BB11_24 Depth=3
	s_andn2_saveexec_b64 s[30:31], s[30:31]
; %bb.31:                               ;   in Loop: Header=BB11_24 Depth=3
	v_mov_b32_e32 v11, s42
	ds_read_b64 v[11:12], v11 offset:8
; %bb.32:                               ;   in Loop: Header=BB11_24 Depth=3
	s_or_b64 exec, exec, s[30:31]
	v_cmp_ne_u32_e32 vcc, s37, v15
	s_or_b64 s[30:31], s[22:23], vcc
                                        ; implicit-def: $vgpr13_vgpr14
	s_and_saveexec_b64 s[44:45], s[30:31]
	s_xor_b64 s[30:31], exec, s[44:45]
	s_cbranch_execz .LBB11_34
; %bb.33:                               ;   in Loop: Header=BB11_24 Depth=3
	flat_load_dwordx2 v[13:14], v[7:8] offset:16
	v_mov_b32_e32 v16, s42
	ds_read_b64 v[26:27], v16 offset:16
	s_waitcnt vmcnt(0) lgkmcnt(0)
	v_mul_f64 v[13:14], v[13:14], v[26:27]
.LBB11_34:                              ;   in Loop: Header=BB11_24 Depth=3
	s_andn2_saveexec_b64 s[30:31], s[30:31]
; %bb.35:                               ;   in Loop: Header=BB11_24 Depth=3
	v_mov_b32_e32 v13, s42
	ds_read_b64 v[13:14], v13 offset:16
; %bb.36:                               ;   in Loop: Header=BB11_24 Depth=3
	s_or_b64 exec, exec, s[30:31]
	v_cmp_ne_u32_e32 vcc, s38, v15
	s_or_b64 s[30:31], s[22:23], vcc
                                        ; implicit-def: $vgpr15_vgpr16
	s_and_saveexec_b64 s[44:45], s[30:31]
	s_xor_b64 s[30:31], exec, s[44:45]
	s_cbranch_execz .LBB11_38
; %bb.37:                               ;   in Loop: Header=BB11_24 Depth=3
	flat_load_dwordx2 v[15:16], v[7:8] offset:24
	v_mov_b32_e32 v26, s42
	ds_read_b64 v[26:27], v26 offset:24
	s_waitcnt vmcnt(0) lgkmcnt(0)
	v_mul_f64 v[15:16], v[15:16], v[26:27]
.LBB11_38:                              ;   in Loop: Header=BB11_24 Depth=3
	s_andn2_saveexec_b64 s[30:31], s[30:31]
	s_cbranch_execz .LBB11_23
; %bb.39:                               ;   in Loop: Header=BB11_24 Depth=3
	v_mov_b32_e32 v15, s42
	ds_read_b64 v[15:16], v15 offset:24
	s_branch .LBB11_23
.LBB11_40:                              ;   in Loop: Header=BB11_5 Depth=1
	s_or_b64 exec, exec, s[24:25]
.LBB11_41:                              ;   in Loop: Header=BB11_5 Depth=1
	s_and_saveexec_b64 s[24:25], s[0:1]
	s_cbranch_execz .LBB11_4
; %bb.42:                               ;   in Loop: Header=BB11_5 Depth=1
	v_mad_u64_u32 v[3:4], s[0:1], s10, v21, 0
	v_mov_b32_e32 v1, v4
	v_mad_u64_u32 v[4:5], s[0:1], s11, v21, v[1:2]
	ds_read_b64 v[5:6], v17
	v_mov_b32_e32 v1, s58
	v_lshlrev_b64 v[3:4], 3, v[3:4]
	v_add_co_u32_e32 v3, vcc, s33, v3
	v_addc_co_u32_e32 v4, vcc, v1, v4, vcc
	s_waitcnt lgkmcnt(0)
	flat_store_dwordx2 v[3:4], v[5:6]
	s_branch .LBB11_4
.LBB11_43:
	s_mov_b64 s[0:1], 0
.LBB11_44:
	s_andn2_b64 vcc, exec, s[0:1]
	s_cbranch_vccnz .LBB11_92
; %bb.45:
	s_andn2_b64 vcc, exec, s[8:9]
	s_cbranch_vccnz .LBB11_92
; %bb.46:
	v_mov_b32_e32 v2, 0
	v_mov_b32_e32 v1, v2
	v_mad_u64_u32 v[3:4], s[0:1], v0, v0, v[0:1]
	v_lshlrev_b32_e32 v1, 10, v0
	v_add_co_u32_e32 v7, vcc, 0x40200, v1
	v_or_b32_e32 v1, 0x200, v0
	v_mov_b32_e32 v6, v2
	v_lshlrev_b32_e32 v15, 3, v0
	v_addc_co_u32_e64 v8, s[0:1], 0, 0, vcc
	s_mov_b32 s14, 0
	v_add_u32_e32 v16, 0x201, v0
	v_mov_b32_e32 v17, s7
	s_xor_b64 s[22:23], s[12:13], -1
	v_mov_b32_e32 v5, v1
	s_mov_b64 s[24:25], s[6:7]
	s_branch .LBB11_48
.LBB11_47:                              ;   in Loop: Header=BB11_48 Depth=1
	s_or_b64 exec, exec, s[4:5]
	v_add_co_u32_e32 v9, vcc, 0x80000, v7
	v_addc_co_u32_e32 v10, vcc, 0, v8, vcc
	v_add_co_u32_e32 v3, vcc, v3, v7
	v_addc_co_u32_e32 v4, vcc, v4, v8, vcc
	v_add_co_u32_e32 v5, vcc, 0x200, v5
	s_add_u32 s24, s24, 0x1000
	v_addc_co_u32_e32 v6, vcc, 0, v6, vcc
	v_mov_b32_e32 v7, v9
	s_addc_u32 s25, s25, 0
	v_add_u32_e32 v16, 0x200, v16
	s_and_b64 vcc, exec, s[2:3]
	v_mov_b32_e32 v8, v10
	s_mov_b32 s14, s34
	s_waitcnt vmcnt(0) lgkmcnt(0)
	s_barrier
	s_cbranch_vccnz .LBB11_92
.LBB11_48:                              ; =>This Loop Header: Depth=1
                                        ;     Child Loop BB11_52 Depth 2
                                        ;     Child Loop BB11_66 Depth 2
                                        ;       Child Loop BB11_69 Depth 3
	v_add_u32_e32 v18, s14, v0
	v_cmp_le_i32_e32 vcc, s15, v18
	v_cmp_gt_i32_e64 s[0:1], s15, v18
	s_and_saveexec_b64 s[4:5], s[0:1]
	s_cbranch_execz .LBB11_50
; %bb.49:                               ;   in Loop: Header=BB11_48 Depth=1
	v_mad_u64_u32 v[9:10], s[2:3], s10, v18, 0
	v_mov_b32_e32 v1, v10
	v_mad_u64_u32 v[10:11], s[2:3], s11, v18, v[1:2]
	v_mov_b32_e32 v1, s58
	v_lshlrev_b64 v[9:10], 3, v[9:10]
	v_add_co_u32_e64 v9, s[2:3], s33, v9
	v_addc_co_u32_e64 v10, s[2:3], v1, v10, s[2:3]
	flat_load_dwordx2 v[9:10], v[9:10]
	s_waitcnt vmcnt(0) lgkmcnt(0)
	ds_write_b64 v15, v[9:10]
.LBB11_50:                              ;   in Loop: Header=BB11_48 Depth=1
	s_or_b64 exec, exec, s[4:5]
	v_lshlrev_b64 v[9:10], 2, v[3:4]
	v_mov_b32_e32 v19, s25
	v_and_b32_e32 v1, -8, v9
	v_add_co_u32_e64 v9, s[2:3], s24, v1
	v_or_b32_e32 v1, s14, v0
	v_add_u32_e32 v11, 1, v1
	v_addc_co_u32_e64 v10, s[2:3], v19, v10, s[2:3]
	v_mad_u64_u32 v[11:12], s[2:3], v11, v1, 0
	v_lshlrev_b64 v[13:14], 3, v[1:2]
	v_cmp_le_i32_e64 s[2:3], s15, v1
	v_lshlrev_b64 v[11:12], 2, v[11:12]
	v_add_co_u32_e64 v1, s[4:5], s6, v13
	v_addc_co_u32_e64 v13, s[4:5], v17, v14, s[4:5]
	v_and_b32_e32 v11, -8, v11
	v_add_co_u32_e64 v11, s[4:5], v1, v11
	v_addc_co_u32_e64 v12, s[4:5], v13, v12, s[4:5]
	s_mov_b32 s28, 0
	s_xor_b64 s[4:5], vcc, -1
	s_mov_b32 s29, 0
	s_waitcnt lgkmcnt(0)
	s_barrier
	s_branch .LBB11_52
.LBB11_51:                              ;   in Loop: Header=BB11_52 Depth=2
	s_or_b64 exec, exec, s[26:27]
	s_add_i32 s28, s28, 16
	s_add_i32 s29, s30, 1
	v_add_co_u32_e32 v9, vcc, 16, v9
	s_cmpk_eq_i32 s29, 0x200
	v_addc_co_u32_e32 v10, vcc, 0, v10, vcc
	s_cbranch_scc1 .LBB11_62
.LBB11_52:                              ;   Parent Loop BB11_48 Depth=1
                                        ; =>  This Inner Loop Header: Depth=2
	v_cmp_ne_u32_e32 vcc, s29, v0
	s_or_b64 s[26:27], s[12:13], vcc
	s_nor_b64 s[30:31], s[26:27], s[2:3]
	s_and_saveexec_b64 s[26:27], s[30:31]
	s_cbranch_execz .LBB11_54
; %bb.53:                               ;   in Loop: Header=BB11_52 Depth=2
	flat_load_dwordx2 v[13:14], v[11:12]
	ds_read_b64 v[20:21], v15
	s_waitcnt vmcnt(0) lgkmcnt(0)
	v_div_scale_f64 v[22:23], s[30:31], v[13:14], v[13:14], v[20:21]
	v_div_scale_f64 v[28:29], vcc, v[20:21], v[13:14], v[20:21]
	v_rcp_f64_e32 v[24:25], v[22:23]
	v_fma_f64 v[26:27], -v[22:23], v[24:25], 1.0
	v_fma_f64 v[24:25], v[24:25], v[26:27], v[24:25]
	v_fma_f64 v[26:27], -v[22:23], v[24:25], 1.0
	v_fma_f64 v[24:25], v[24:25], v[26:27], v[24:25]
	v_mul_f64 v[26:27], v[28:29], v[24:25]
	v_fma_f64 v[22:23], -v[22:23], v[26:27], v[28:29]
	v_div_fmas_f64 v[22:23], v[22:23], v[24:25], v[26:27]
	v_div_fixup_f64 v[13:14], v[22:23], v[13:14], v[20:21]
	ds_write_b64 v15, v[13:14]
.LBB11_54:                              ;   in Loop: Header=BB11_52 Depth=2
	s_or_b64 exec, exec, s[26:27]
	v_cmp_lt_u32_e32 vcc, s29, v0
	s_waitcnt lgkmcnt(0)
	s_barrier
	s_and_saveexec_b64 s[26:27], vcc
	s_cbranch_execz .LBB11_57
; %bb.55:                               ;   in Loop: Header=BB11_52 Depth=2
	s_add_i32 s30, s14, s29
	s_cmp_lt_i32 s30, s15
	s_cselect_b64 s[30:31], -1, 0
	s_and_b64 s[30:31], s[4:5], s[30:31]
	s_and_b64 exec, exec, s[30:31]
	s_cbranch_execz .LBB11_57
; %bb.56:                               ;   in Loop: Header=BB11_52 Depth=2
	flat_load_dwordx2 v[13:14], v[9:10]
	v_mov_b32_e32 v1, s28
	ds_read_b64 v[20:21], v1
	ds_read_b64 v[22:23], v15
	s_waitcnt vmcnt(0) lgkmcnt(0)
	v_fma_f64 v[13:14], -v[13:14], v[20:21], v[22:23]
	ds_write_b64 v15, v[13:14]
.LBB11_57:                              ;   in Loop: Header=BB11_52 Depth=2
	s_or_b64 exec, exec, s[26:27]
	s_add_i32 s30, s29, 1
	v_cmp_ne_u32_e32 vcc, s30, v0
	s_or_b64 s[26:27], s[12:13], vcc
	s_nor_b64 s[34:35], s[26:27], s[2:3]
	s_and_saveexec_b64 s[26:27], s[34:35]
	s_cbranch_execz .LBB11_59
; %bb.58:                               ;   in Loop: Header=BB11_52 Depth=2
	flat_load_dwordx2 v[13:14], v[11:12]
	ds_read_b64 v[20:21], v15
	s_waitcnt vmcnt(0) lgkmcnt(0)
	v_div_scale_f64 v[22:23], s[34:35], v[13:14], v[13:14], v[20:21]
	v_div_scale_f64 v[28:29], vcc, v[20:21], v[13:14], v[20:21]
	v_rcp_f64_e32 v[24:25], v[22:23]
	v_fma_f64 v[26:27], -v[22:23], v[24:25], 1.0
	v_fma_f64 v[24:25], v[24:25], v[26:27], v[24:25]
	v_fma_f64 v[26:27], -v[22:23], v[24:25], 1.0
	v_fma_f64 v[24:25], v[24:25], v[26:27], v[24:25]
	v_mul_f64 v[26:27], v[28:29], v[24:25]
	v_fma_f64 v[22:23], -v[22:23], v[26:27], v[28:29]
	v_div_fmas_f64 v[22:23], v[22:23], v[24:25], v[26:27]
	v_div_fixup_f64 v[13:14], v[22:23], v[13:14], v[20:21]
	ds_write_b64 v15, v[13:14]
.LBB11_59:                              ;   in Loop: Header=BB11_52 Depth=2
	s_or_b64 exec, exec, s[26:27]
	v_cmp_lt_u32_e32 vcc, s30, v0
	s_waitcnt lgkmcnt(0)
	s_barrier
	s_and_saveexec_b64 s[26:27], vcc
	s_cbranch_execz .LBB11_51
; %bb.60:                               ;   in Loop: Header=BB11_52 Depth=2
	s_add_i32 s29, s14, s29
	s_add_i32 s29, s29, 1
	s_cmp_lt_i32 s29, s15
	s_cselect_b64 s[34:35], -1, 0
	s_and_b64 s[34:35], s[4:5], s[34:35]
	s_and_b64 exec, exec, s[34:35]
	s_cbranch_execz .LBB11_51
; %bb.61:                               ;   in Loop: Header=BB11_52 Depth=2
	flat_load_dwordx2 v[13:14], v[9:10] offset:8
	v_mov_b32_e32 v1, s28
	ds_read_b64 v[20:21], v1 offset:8
	ds_read_b64 v[22:23], v15
	s_waitcnt vmcnt(0) lgkmcnt(0)
	v_fma_f64 v[13:14], -v[13:14], v[20:21], v[22:23]
	ds_write_b64 v15, v[13:14]
	s_branch .LBB11_51
.LBB11_62:                              ;   in Loop: Header=BB11_48 Depth=1
	s_add_i32 s34, s14, 0x200
	s_cmp_ge_i32 s34, s15
	s_cselect_b64 s[2:3], -1, 0
	s_and_b64 vcc, exec, s[2:3]
	s_waitcnt lgkmcnt(0)
	s_barrier
	s_cbranch_vccnz .LBB11_90
; %bb.63:                               ;   in Loop: Header=BB11_48 Depth=1
	v_mov_b32_e32 v10, v6
	s_mov_b64 s[4:5], 0
	v_mov_b32_e32 v1, v16
	v_mov_b32_e32 v9, v5
	;; [unrolled: 1-line block ×3, first 2 shown]
	s_mov_b32 s35, s34
                                        ; implicit-def: $sgpr26_sgpr27
	s_branch .LBB11_66
.LBB11_64:                              ;   in Loop: Header=BB11_66 Depth=2
	v_mad_u64_u32 v[13:14], s[30:31], s10, v21, 0
	s_addk_i32 s35, 0x200
	s_cmp_ge_i32 s35, s15
	v_mad_u64_u32 v[21:22], s[30:31], s11, v21, v[14:15]
	v_mov_b32_e32 v22, s58
	s_cselect_b64 s[30:31], -1, 0
	v_mov_b32_e32 v14, v21
	v_lshlrev_b64 v[13:14], 3, v[13:14]
	s_andn2_b64 s[26:27], s[26:27], exec
	v_add_co_u32_e32 v13, vcc, s33, v13
	v_addc_co_u32_e32 v14, vcc, v22, v14, vcc
	flat_load_dwordx2 v[21:22], v[13:14]
	v_add_co_u32_e32 v9, vcc, 0x200, v9
	s_and_b64 s[30:31], s[30:31], exec
	v_add_u32_e32 v1, 0x200, v1
	v_addc_co_u32_e32 v10, vcc, 0, v10, vcc
	s_or_b64 s[26:27], s[26:27], s[30:31]
	s_waitcnt vmcnt(0) lgkmcnt(0)
	v_add_f64 v[11:12], v[21:22], -v[11:12]
	flat_store_dwordx2 v[13:14], v[11:12]
.LBB11_65:                              ;   in Loop: Header=BB11_66 Depth=2
	s_or_b64 exec, exec, s[28:29]
	s_and_b64 s[28:29], exec, s[26:27]
	s_or_b64 s[4:5], s[28:29], s[4:5]
	s_andn2_b64 exec, exec, s[4:5]
	s_cbranch_execz .LBB11_89
.LBB11_66:                              ;   Parent Loop BB11_48 Depth=1
                                        ; =>  This Loop Header: Depth=2
                                        ;       Child Loop BB11_69 Depth 3
	v_add_u32_e32 v21, s35, v0
	v_cmp_gt_i32_e32 vcc, s15, v21
	s_or_b64 s[26:27], s[26:27], exec
	s_and_saveexec_b64 s[28:29], vcc
	s_cbranch_execz .LBB11_65
; %bb.67:                               ;   in Loop: Header=BB11_66 Depth=2
	v_mad_u64_u32 v[11:12], s[30:31], v9, v1, 0
	v_add_u32_e32 v22, 0x1fd, v20
	v_add_u32_e32 v23, 0x1fe, v20
	v_mad_u64_u32 v[12:13], s[30:31], v10, v1, v[12:13]
	v_add_u32_e32 v24, 0x1ff, v20
	v_add_u32_e32 v20, 0x200, v20
	v_lshlrev_b64 v[11:12], 2, v[11:12]
	s_mov_b32 s36, 0
	v_and_b32_e32 v11, -8, v11
	v_add_co_u32_e32 v13, vcc, s24, v11
	v_addc_co_u32_e32 v14, vcc, v19, v12, vcc
	v_mov_b32_e32 v11, 0
	v_mov_b32_e32 v12, 0
	s_mov_b32 s37, 0
	s_branch .LBB11_69
.LBB11_68:                              ;   in Loop: Header=BB11_69 Depth=3
	s_or_b64 exec, exec, s[30:31]
	s_add_i32 s37, s37, 4
	s_add_i32 s36, s36, 32
	v_add_co_u32_e32 v13, vcc, 32, v13
	s_cmpk_eq_i32 s37, 0x200
	v_addc_co_u32_e32 v14, vcc, 0, v14, vcc
	s_cbranch_scc1 .LBB11_64
.LBB11_69:                              ;   Parent Loop BB11_48 Depth=1
                                        ;     Parent Loop BB11_66 Depth=2
                                        ; =>    This Inner Loop Header: Depth=3
	v_cmp_ne_u32_e32 vcc, s37, v20
	s_add_i32 s38, s14, s37
	s_or_b64 s[30:31], s[22:23], vcc
	s_and_saveexec_b64 s[40:41], s[30:31]
	s_xor_b64 s[30:31], exec, s[40:41]
	s_cbranch_execz .LBB11_72
; %bb.70:                               ;   in Loop: Header=BB11_69 Depth=3
	s_cmp_ge_i32 s38, s15
	s_cbranch_scc1 .LBB11_72
; %bb.71:                               ;   in Loop: Header=BB11_69 Depth=3
	flat_load_dwordx2 v[25:26], v[13:14]
	v_mov_b32_e32 v27, s36
	ds_read_b64 v[27:28], v27
	s_waitcnt vmcnt(0) lgkmcnt(0)
	v_fma_f64 v[11:12], v[25:26], v[27:28], v[11:12]
.LBB11_72:                              ;   in Loop: Header=BB11_69 Depth=3
	s_andn2_saveexec_b64 s[30:31], s[30:31]
	s_cbranch_execz .LBB11_74
; %bb.73:                               ;   in Loop: Header=BB11_69 Depth=3
	v_mov_b32_e32 v25, s36
	ds_read_b64 v[25:26], v25
	s_waitcnt lgkmcnt(0)
	v_add_f64 v[11:12], v[11:12], v[25:26]
.LBB11_74:                              ;   in Loop: Header=BB11_69 Depth=3
	s_or_b64 exec, exec, s[30:31]
	v_cmp_ne_u32_e32 vcc, s37, v24
	s_or_b64 s[30:31], s[22:23], vcc
	s_and_saveexec_b64 s[40:41], s[30:31]
	s_xor_b64 s[30:31], exec, s[40:41]
	s_cbranch_execz .LBB11_77
; %bb.75:                               ;   in Loop: Header=BB11_69 Depth=3
	s_add_i32 s39, s38, 1
	s_cmp_ge_i32 s39, s15
	s_cbranch_scc1 .LBB11_77
; %bb.76:                               ;   in Loop: Header=BB11_69 Depth=3
	flat_load_dwordx2 v[25:26], v[13:14] offset:8
	v_mov_b32_e32 v27, s36
	ds_read_b64 v[27:28], v27 offset:8
	s_waitcnt vmcnt(0) lgkmcnt(0)
	v_fma_f64 v[11:12], v[25:26], v[27:28], v[11:12]
.LBB11_77:                              ;   in Loop: Header=BB11_69 Depth=3
	s_andn2_saveexec_b64 s[30:31], s[30:31]
	s_cbranch_execz .LBB11_79
; %bb.78:                               ;   in Loop: Header=BB11_69 Depth=3
	v_mov_b32_e32 v25, s36
	ds_read_b64 v[25:26], v25 offset:8
	s_waitcnt lgkmcnt(0)
	v_add_f64 v[11:12], v[11:12], v[25:26]
.LBB11_79:                              ;   in Loop: Header=BB11_69 Depth=3
	s_or_b64 exec, exec, s[30:31]
	v_cmp_ne_u32_e32 vcc, s37, v23
	s_or_b64 s[30:31], s[22:23], vcc
	s_and_saveexec_b64 s[40:41], s[30:31]
	s_xor_b64 s[30:31], exec, s[40:41]
	s_cbranch_execz .LBB11_82
; %bb.80:                               ;   in Loop: Header=BB11_69 Depth=3
	s_add_i32 s39, s38, 2
	s_cmp_ge_i32 s39, s15
	s_cbranch_scc1 .LBB11_82
; %bb.81:                               ;   in Loop: Header=BB11_69 Depth=3
	flat_load_dwordx2 v[25:26], v[13:14] offset:16
	v_mov_b32_e32 v27, s36
	ds_read_b64 v[27:28], v27 offset:16
	s_waitcnt vmcnt(0) lgkmcnt(0)
	v_fma_f64 v[11:12], v[25:26], v[27:28], v[11:12]
.LBB11_82:                              ;   in Loop: Header=BB11_69 Depth=3
	s_andn2_saveexec_b64 s[30:31], s[30:31]
	s_cbranch_execz .LBB11_84
; %bb.83:                               ;   in Loop: Header=BB11_69 Depth=3
	v_mov_b32_e32 v25, s36
	ds_read_b64 v[25:26], v25 offset:16
	s_waitcnt lgkmcnt(0)
	v_add_f64 v[11:12], v[11:12], v[25:26]
.LBB11_84:                              ;   in Loop: Header=BB11_69 Depth=3
	s_or_b64 exec, exec, s[30:31]
	v_cmp_ne_u32_e32 vcc, s37, v22
	s_or_b64 s[30:31], s[22:23], vcc
	s_and_saveexec_b64 s[40:41], s[30:31]
	s_xor_b64 s[30:31], exec, s[40:41]
	s_cbranch_execz .LBB11_87
; %bb.85:                               ;   in Loop: Header=BB11_69 Depth=3
	s_add_i32 s38, s38, 3
	s_cmp_ge_i32 s38, s15
	s_cbranch_scc1 .LBB11_87
; %bb.86:                               ;   in Loop: Header=BB11_69 Depth=3
	flat_load_dwordx2 v[25:26], v[13:14] offset:24
	v_mov_b32_e32 v27, s36
	ds_read_b64 v[27:28], v27 offset:24
	s_waitcnt vmcnt(0) lgkmcnt(0)
	v_fma_f64 v[11:12], v[25:26], v[27:28], v[11:12]
.LBB11_87:                              ;   in Loop: Header=BB11_69 Depth=3
	s_andn2_saveexec_b64 s[30:31], s[30:31]
	s_cbranch_execz .LBB11_68
; %bb.88:                               ;   in Loop: Header=BB11_69 Depth=3
	v_mov_b32_e32 v25, s36
	ds_read_b64 v[25:26], v25 offset:24
	s_waitcnt lgkmcnt(0)
	v_add_f64 v[11:12], v[11:12], v[25:26]
	s_branch .LBB11_68
.LBB11_89:                              ;   in Loop: Header=BB11_48 Depth=1
	s_or_b64 exec, exec, s[4:5]
.LBB11_90:                              ;   in Loop: Header=BB11_48 Depth=1
	s_and_saveexec_b64 s[4:5], s[0:1]
	s_cbranch_execz .LBB11_47
; %bb.91:                               ;   in Loop: Header=BB11_48 Depth=1
	v_mad_u64_u32 v[9:10], s[0:1], s10, v18, 0
	v_mov_b32_e32 v1, v10
	v_mad_u64_u32 v[10:11], s[0:1], s11, v18, v[1:2]
	ds_read_b64 v[11:12], v15
	v_mov_b32_e32 v1, s58
	v_lshlrev_b64 v[9:10], 3, v[9:10]
	v_add_co_u32_e32 v9, vcc, s33, v9
	v_addc_co_u32_e32 v10, vcc, v1, v10, vcc
	s_waitcnt lgkmcnt(0)
	flat_store_dwordx2 v[9:10], v[11:12]
	s_branch .LBB11_47
.LBB11_92:
	s_mov_b64 s[0:1], 0
.LBB11_93:
	s_andn2_b64 vcc, exec, s[0:1]
	s_cbranch_vccnz .LBB11_159
; %bb.94:
	s_mov_b64 s[0:1], -1
	s_and_b64 vcc, exec, s[20:21]
	s_cbranch_vccz .LBB11_129
; %bb.95:
	s_andn2_b64 vcc, exec, s[8:9]
	s_cbranch_vccnz .LBB11_128
; %bb.96:
	s_lshl_b32 s20, s15, 1
	s_or_b32 s14, s20, 1
	s_ashr_i32 s21, s20, 31
	s_add_u32 s59, s16, s18
	s_addc_u32 s0, s17, s19
	v_mov_b32_e32 v17, s0
	s_lshl_b64 s[0:1], s[20:21], 9
	s_add_u32 s34, s0, 0xfffc0200
	s_addc_u32 s35, s1, -1
	s_add_u32 s28, s0, 0xfffbfe00
	s_addc_u32 s29, s1, -1
	s_lshl_b64 s[0:1], s[20:21], 1
	s_add_u32 s16, s0, -6
	v_lshlrev_b32_e32 v16, 3, v0
	s_addc_u32 s17, s1, -1
	v_add_co_u32_e32 v2, vcc, s59, v16
	s_add_u32 s18, s0, -2
	v_mov_b32_e32 v1, 0
	v_addc_co_u32_e32 v3, vcc, 0, v17, vcc
	v_or_b32_e32 v18, 0x200, v0
	s_addc_u32 s19, s1, -1
	s_mov_b64 s[22:23], -1
	s_mov_b64 s[24:25], 0
	v_mov_b32_e32 v19, s7
	s_mov_b64 s[26:27], 0
	s_mov_b64 s[30:31], s[20:21]
	;; [unrolled: 1-line block ×3, first 2 shown]
	s_branch .LBB11_98
.LBB11_97:                              ;   in Loop: Header=BB11_98 Depth=1
	s_or_b64 exec, exec, s[36:37]
	s_add_u32 s0, s34, 0xfff80000
	s_addc_u32 s1, s35, -1
	s_add_u32 s24, s24, s34
	s_addc_u32 s25, s25, s35
	s_add_u32 s30, s30, 0xfffffc00
	s_addc_u32 s31, s31, -1
	s_add_u32 s22, s22, 0xfffffe00
	s_addc_u32 s23, s23, -1
	;; [unrolled: 2-line block ×3, first 2 shown]
	s_add_u32 s20, s20, s28
	s_addc_u32 s21, s21, s29
	s_add_u32 s16, s16, 0xfffff800
	s_addc_u32 s17, s17, -1
	s_add_u32 s26, s26, 0xfffffe00
	s_addc_u32 s27, s27, -1
	s_add_u32 s18, s18, 0xfffff800
	v_add_u32_e32 v18, 0x200, v18
	s_addc_u32 s19, s19, -1
	s_and_b64 vcc, exec, s[4:5]
	s_mov_b64 s[28:29], s[34:35]
	s_mov_b64 s[34:35], s[0:1]
	;; [unrolled: 1-line block ×3, first 2 shown]
	s_waitcnt vmcnt(0) lgkmcnt(0)
	s_barrier
	s_cbranch_vccnz .LBB11_128
.LBB11_98:                              ; =>This Loop Header: Depth=1
                                        ;     Child Loop BB11_102 Depth 2
                                        ;     Child Loop BB11_111 Depth 2
                                        ;       Child Loop BB11_113 Depth 3
	v_add_u32_e32 v20, s36, v0
	v_cmp_le_i32_e32 vcc, s15, v20
	v_cmp_gt_i32_e64 s[0:1], s15, v20
	s_and_saveexec_b64 s[4:5], s[0:1]
	s_cbranch_execz .LBB11_100
; %bb.99:                               ;   in Loop: Header=BB11_98 Depth=1
	v_mad_u64_u32 v[4:5], s[2:3], s10, v20, 0
	v_mad_u64_u32 v[5:6], s[2:3], s11, v20, v[5:6]
	v_mov_b32_e32 v6, s58
	v_lshlrev_b64 v[4:5], 3, v[4:5]
	v_add_co_u32_e64 v4, s[2:3], s33, v4
	v_addc_co_u32_e64 v5, s[2:3], v6, v5, s[2:3]
	flat_load_dwordx2 v[4:5], v[4:5]
	s_waitcnt vmcnt(0) lgkmcnt(0)
	ds_write_b64 v16, v[4:5]
.LBB11_100:                             ;   in Loop: Header=BB11_98 Depth=1
	s_or_b64 exec, exec, s[4:5]
	v_or_b32_e32 v7, s36, v0
	v_sub_u32_e32 v6, s14, v7
	v_mad_u64_u32 v[4:5], s[2:3], v6, v7, 0
	v_ashrrev_i32_e32 v6, 31, v6
	s_mov_b32 s46, 0
	v_mad_u64_u32 v[5:6], s[2:3], v6, v7, v[5:6]
	v_cmp_le_i32_e64 s[2:3], s15, v7
	v_mov_b32_e32 v7, v3
	v_lshlrev_b64 v[4:5], 2, v[4:5]
	s_xor_b64 s[38:39], vcc, -1
	v_and_b32_e32 v4, -8, v4
	v_add_co_u32_e64 v4, s[4:5], s6, v4
	v_addc_co_u32_e64 v5, s[4:5], v19, v5, s[4:5]
	s_mov_b64 s[4:5], 0
	s_mov_b64 s[40:41], s[24:25]
	;; [unrolled: 1-line block ×3, first 2 shown]
	v_mov_b32_e32 v6, v2
	s_waitcnt lgkmcnt(0)
	s_barrier
	s_branch .LBB11_102
.LBB11_101:                             ;   in Loop: Header=BB11_102 Depth=2
	s_or_b64 exec, exec, s[44:45]
	s_add_u32 s4, s4, 1
	s_addc_u32 s5, s5, 0
	s_add_u32 s44, s42, -2
	s_addc_u32 s45, s43, -1
	s_add_u32 s40, s40, s42
	v_add_co_u32_e32 v6, vcc, -8, v6
	s_addc_u32 s41, s41, s43
	s_add_i32 s46, s46, 8
	v_addc_co_u32_e32 v7, vcc, -1, v7, vcc
	s_cmpk_eq_i32 s4, 0x200
	s_mov_b64 s[42:43], s[44:45]
	s_cbranch_scc1 .LBB11_107
.LBB11_102:                             ;   Parent Loop BB11_98 Depth=1
                                        ; =>  This Inner Loop Header: Depth=2
	v_cmp_ne_u32_e32 vcc, s4, v0
	s_or_b64 s[44:45], s[12:13], vcc
	s_nor_b64 s[48:49], s[44:45], s[2:3]
	s_and_saveexec_b64 s[44:45], s[48:49]
	s_cbranch_execz .LBB11_104
; %bb.103:                              ;   in Loop: Header=BB11_102 Depth=2
	flat_load_dwordx2 v[8:9], v[4:5]
	ds_read_b64 v[10:11], v16
	s_waitcnt vmcnt(0) lgkmcnt(0)
	v_div_scale_f64 v[12:13], s[48:49], v[8:9], v[8:9], v[10:11]
	v_div_scale_f64 v[23:24], vcc, v[10:11], v[8:9], v[10:11]
	v_rcp_f64_e32 v[14:15], v[12:13]
	v_fma_f64 v[21:22], -v[12:13], v[14:15], 1.0
	v_fma_f64 v[14:15], v[14:15], v[21:22], v[14:15]
	v_fma_f64 v[21:22], -v[12:13], v[14:15], 1.0
	v_fma_f64 v[14:15], v[14:15], v[21:22], v[14:15]
	v_mul_f64 v[21:22], v[23:24], v[14:15]
	v_fma_f64 v[12:13], -v[12:13], v[21:22], v[23:24]
	v_div_fmas_f64 v[12:13], v[12:13], v[14:15], v[21:22]
	v_div_fixup_f64 v[8:9], v[12:13], v[8:9], v[10:11]
	ds_write_b64 v16, v[8:9]
.LBB11_104:                             ;   in Loop: Header=BB11_102 Depth=2
	s_or_b64 exec, exec, s[44:45]
	v_cmp_lt_u32_e32 vcc, s4, v0
	s_waitcnt lgkmcnt(0)
	s_barrier
	s_and_saveexec_b64 s[44:45], vcc
	s_cbranch_execz .LBB11_101
; %bb.105:                              ;   in Loop: Header=BB11_102 Depth=2
	s_add_i32 s47, s36, s4
	s_cmp_lt_i32 s47, s15
	s_cselect_b64 s[48:49], -1, 0
	s_and_b64 s[48:49], s[38:39], s[48:49]
	s_and_b64 exec, exec, s[48:49]
	s_cbranch_execz .LBB11_101
; %bb.106:                              ;   in Loop: Header=BB11_102 Depth=2
	s_lshl_b64 s[48:49], s[40:41], 2
	s_and_b32 s47, s48, -8
	v_mov_b32_e32 v9, s49
	v_add_co_u32_e32 v8, vcc, s47, v6
	v_addc_co_u32_e32 v9, vcc, v7, v9, vcc
	flat_load_dwordx2 v[8:9], v[8:9]
	v_mov_b32_e32 v10, s46
	ds_read_b64 v[10:11], v10
	ds_read_b64 v[12:13], v16
	s_waitcnt vmcnt(0) lgkmcnt(0)
	v_fma_f64 v[8:9], -v[8:9], v[10:11], v[12:13]
	ds_write_b64 v16, v[8:9]
	s_branch .LBB11_101
.LBB11_107:                             ;   in Loop: Header=BB11_98 Depth=1
	s_add_u32 s2, s36, 0x200
	s_addc_u32 s3, s37, 0
	s_cmp_ge_i32 s2, s15
	s_cselect_b64 s[4:5], -1, 0
	s_and_b64 vcc, exec, s[4:5]
	s_waitcnt lgkmcnt(0)
	s_barrier
	s_cbranch_vccnz .LBB11_126
; %bb.108:                              ;   in Loop: Header=BB11_98 Depth=1
	v_ashrrev_i32_e32 v7, 31, v18
	v_mov_b32_e32 v5, s23
	v_add_co_u32_e32 v4, vcc, s22, v18
	v_addc_co_u32_e32 v5, vcc, v5, v7, vcc
	v_lshlrev_b64 v[4:5], 3, v[4:5]
	v_mov_b32_e32 v8, s27
	v_add_co_u32_e32 v4, vcc, s59, v4
	v_addc_co_u32_e32 v5, vcc, v17, v5, vcc
	v_add_co_u32_e32 v6, vcc, s26, v18
	v_addc_co_u32_e32 v7, vcc, v8, v7, vcc
	v_lshlrev_b64 v[6:7], 3, v[6:7]
	v_mov_b32_e32 v9, v1
	v_add_co_u32_e32 v6, vcc, s59, v6
	s_mov_b32 s37, s2
	v_addc_co_u32_e32 v7, vcc, v17, v7, vcc
	s_mov_b64 s[38:39], 0
	v_mov_b32_e32 v8, v0
                                        ; implicit-def: $sgpr40_sgpr41
	s_branch .LBB11_111
.LBB11_109:                             ;   in Loop: Header=BB11_111 Depth=2
	v_mad_u64_u32 v[12:13], s[44:45], s10, v21, 0
	s_addk_i32 s37, 0x200
	s_cmp_ge_i32 s37, s15
	v_mad_u64_u32 v[13:14], s[44:45], s11, v21, v[13:14]
	v_mov_b32_e32 v14, s58
	s_cselect_b64 s[44:45], -1, 0
	v_lshlrev_b64 v[12:13], 3, v[12:13]
	s_andn2_b64 s[40:41], s[40:41], exec
	v_add_co_u32_e32 v12, vcc, s33, v12
	v_addc_co_u32_e32 v13, vcc, v14, v13, vcc
	flat_load_dwordx2 v[14:15], v[12:13]
	v_add_co_u32_e32 v4, vcc, 0x1000, v4
	v_addc_co_u32_e32 v5, vcc, 0, v5, vcc
	v_add_co_u32_e32 v6, vcc, 0x1000, v6
	s_and_b64 s[44:45], s[44:45], exec
	v_addc_co_u32_e32 v7, vcc, 0, v7, vcc
	s_or_b64 s[40:41], s[40:41], s[44:45]
	s_waitcnt vmcnt(0) lgkmcnt(0)
	v_add_f64 v[10:11], v[14:15], -v[10:11]
	flat_store_dwordx2 v[12:13], v[10:11]
.LBB11_110:                             ;   in Loop: Header=BB11_111 Depth=2
	s_or_b64 exec, exec, s[42:43]
	s_and_b64 s[42:43], exec, s[40:41]
	s_or_b64 s[38:39], s[42:43], s[38:39]
	s_andn2_b64 exec, exec, s[38:39]
	s_cbranch_execz .LBB11_125
.LBB11_111:                             ;   Parent Loop BB11_98 Depth=1
                                        ; =>  This Loop Header: Depth=2
                                        ;       Child Loop BB11_113 Depth 3
	v_add_u32_e32 v21, s37, v0
	v_cmp_gt_i32_e32 vcc, s15, v21
	s_or_b64 s[40:41], s[40:41], exec
	s_and_saveexec_b64 s[42:43], vcc
	s_cbranch_execz .LBB11_110
; %bb.112:                              ;   in Loop: Header=BB11_111 Depth=2
	v_add_co_u32_e32 v22, vcc, 0x1ff, v8
	v_add_co_u32_e32 v8, vcc, 0x200, v8
	v_mov_b32_e32 v10, 0
	v_mov_b32_e32 v13, v7
	v_mov_b32_e32 v15, v5
	v_addc_co_u32_e32 v9, vcc, 0, v9, vcc
	v_mov_b32_e32 v11, 0
	s_mov_b64 s[44:45], 0
	s_mov_b32 s60, 0
	s_mov_b64 s[46:47], s[24:25]
	s_mov_b64 s[50:51], s[18:19]
	v_mov_b32_e32 v12, v6
	s_mov_b64 s[48:49], s[20:21]
	s_mov_b64 s[52:53], s[16:17]
	v_mov_b32_e32 v14, v4
.LBB11_113:                             ;   Parent Loop BB11_98 Depth=1
                                        ;     Parent Loop BB11_111 Depth=2
                                        ; =>    This Inner Loop Header: Depth=3
	v_cmp_ne_u32_e32 vcc, s44, v8
	s_xor_b64 s[54:55], s[12:13], -1
	s_add_u32 s61, s36, s44
	s_or_b64 s[56:57], s[54:55], vcc
	s_and_saveexec_b64 s[62:63], s[56:57]
	s_xor_b64 s[56:57], exec, s[62:63]
	s_cbranch_execz .LBB11_116
; %bb.114:                              ;   in Loop: Header=BB11_113 Depth=3
	s_cmp_ge_i32 s61, s15
	s_cbranch_scc1 .LBB11_116
; %bb.115:                              ;   in Loop: Header=BB11_113 Depth=3
	s_lshl_b64 s[62:63], s[46:47], 2
	s_and_b32 s62, s62, -8
	v_mov_b32_e32 v24, s63
	v_add_co_u32_e32 v23, vcc, s62, v12
	v_addc_co_u32_e32 v24, vcc, v13, v24, vcc
	flat_load_dwordx2 v[23:24], v[23:24]
	v_mov_b32_e32 v25, s60
	ds_read_b64 v[25:26], v25
	s_waitcnt vmcnt(0) lgkmcnt(0)
	v_fma_f64 v[10:11], v[23:24], v[25:26], v[10:11]
.LBB11_116:                             ;   in Loop: Header=BB11_113 Depth=3
	s_andn2_saveexec_b64 s[56:57], s[56:57]
	s_cbranch_execz .LBB11_118
; %bb.117:                              ;   in Loop: Header=BB11_113 Depth=3
	v_mov_b32_e32 v23, s60
	ds_read_b64 v[23:24], v23
	s_waitcnt lgkmcnt(0)
	v_add_f64 v[10:11], v[10:11], v[23:24]
.LBB11_118:                             ;   in Loop: Header=BB11_113 Depth=3
	s_or_b64 exec, exec, s[56:57]
	v_cmp_ne_u32_e32 vcc, s44, v22
	s_or_b64 s[54:55], s[54:55], vcc
	s_and_saveexec_b64 s[56:57], s[54:55]
	s_xor_b64 s[54:55], exec, s[56:57]
	s_cbranch_execz .LBB11_121
; %bb.119:                              ;   in Loop: Header=BB11_113 Depth=3
	s_add_i32 s61, s61, 1
	s_cmp_ge_i32 s61, s15
	s_cbranch_scc1 .LBB11_121
; %bb.120:                              ;   in Loop: Header=BB11_113 Depth=3
	s_lshl_b64 s[56:57], s[48:49], 2
	s_and_b32 s56, s56, -8
	v_mov_b32_e32 v24, s57
	v_add_co_u32_e32 v23, vcc, s56, v14
	v_addc_co_u32_e32 v24, vcc, v15, v24, vcc
	flat_load_dwordx2 v[23:24], v[23:24]
	v_mov_b32_e32 v25, s60
	ds_read_b64 v[25:26], v25 offset:8
	s_waitcnt vmcnt(0) lgkmcnt(0)
	v_fma_f64 v[10:11], v[23:24], v[25:26], v[10:11]
.LBB11_121:                             ;   in Loop: Header=BB11_113 Depth=3
	s_andn2_saveexec_b64 s[54:55], s[54:55]
	s_cbranch_execz .LBB11_123
; %bb.122:                              ;   in Loop: Header=BB11_113 Depth=3
	v_mov_b32_e32 v23, s60
	ds_read_b64 v[23:24], v23 offset:8
	s_waitcnt lgkmcnt(0)
	v_add_f64 v[10:11], v[10:11], v[23:24]
.LBB11_123:                             ;   in Loop: Header=BB11_113 Depth=3
	s_or_b64 exec, exec, s[54:55]
	s_add_u32 s44, s44, 2
	s_addc_u32 s45, s45, 0
	s_add_u32 s54, s52, -8
	s_addc_u32 s55, s53, -1
	s_add_u32 s48, s48, s52
	s_addc_u32 s49, s49, s53
	s_add_i32 s60, s60, 16
	s_add_u32 s52, s50, -8
	v_add_co_u32_e32 v14, vcc, -16, v14
	s_addc_u32 s53, s51, -1
	v_addc_co_u32_e32 v15, vcc, -1, v15, vcc
	s_add_u32 s46, s46, s50
	s_addc_u32 s47, s47, s51
	v_add_co_u32_e32 v12, vcc, -16, v12
	s_cmpk_eq_i32 s44, 0x200
	v_addc_co_u32_e32 v13, vcc, -1, v13, vcc
	s_cbranch_scc1 .LBB11_109
; %bb.124:                              ;   in Loop: Header=BB11_113 Depth=3
	s_mov_b64 s[50:51], s[52:53]
	s_mov_b64 s[52:53], s[54:55]
	s_branch .LBB11_113
.LBB11_125:                             ;   in Loop: Header=BB11_98 Depth=1
	s_or_b64 exec, exec, s[38:39]
.LBB11_126:                             ;   in Loop: Header=BB11_98 Depth=1
	s_and_saveexec_b64 s[36:37], s[0:1]
	s_cbranch_execz .LBB11_97
; %bb.127:                              ;   in Loop: Header=BB11_98 Depth=1
	v_mad_u64_u32 v[4:5], s[0:1], s10, v20, 0
	v_mov_b32_e32 v8, s58
	v_mad_u64_u32 v[5:6], s[0:1], s11, v20, v[5:6]
	ds_read_b64 v[6:7], v16
	v_lshlrev_b64 v[4:5], 3, v[4:5]
	v_add_co_u32_e32 v4, vcc, s33, v4
	v_addc_co_u32_e32 v5, vcc, v8, v5, vcc
	s_waitcnt lgkmcnt(0)
	flat_store_dwordx2 v[4:5], v[6:7]
	s_branch .LBB11_97
.LBB11_128:
	s_mov_b64 s[0:1], 0
.LBB11_129:
	s_andn2_b64 vcc, exec, s[0:1]
	s_cbranch_vccnz .LBB11_159
; %bb.130:
	s_andn2_b64 vcc, exec, s[8:9]
	s_cbranch_vccnz .LBB11_159
; %bb.131:
	v_mov_b32_e32 v1, 0x1000
	v_mov_b32_e32 v3, 0
	s_add_i32 s28, s15, 0xfffffe00
	v_lshl_or_b32 v15, v0, 3, v1
	s_mov_b32 s26, 0
	s_mov_b32 s27, s15
	v_mov_b32_e32 v1, v3
	v_mov_b32_e32 v16, s7
	s_xor_b64 s[4:5], s[12:13], -1
	s_branch .LBB11_133
.LBB11_132:                             ;   in Loop: Header=BB11_133 Depth=1
	s_or_b64 exec, exec, s[8:9]
	s_add_u32 s27, s27, 0xfffffe00
	s_addc_u32 s26, s26, -1
	s_and_b64 vcc, exec, s[2:3]
	s_mov_b32 s28, s7
	s_waitcnt vmcnt(0) lgkmcnt(0)
	s_barrier
	s_cbranch_vccnz .LBB11_159
.LBB11_133:                             ; =>This Loop Header: Depth=1
                                        ;     Child Loop BB11_137 Depth 2
                                        ;     Child Loop BB11_145 Depth 2
                                        ;       Child Loop BB11_148 Depth 3
	v_add_u32_e32 v4, s28, v0
	v_cmp_gt_i32_e32 vcc, 0, v4
	v_cmp_lt_i32_e64 s[0:1], -1, v4
	v_mov_b32_e32 v5, v3
	s_and_saveexec_b64 s[8:9], s[0:1]
	s_cbranch_execz .LBB11_135
; %bb.134:                              ;   in Loop: Header=BB11_133 Depth=1
	v_mad_u64_u32 v[6:7], s[2:3], s10, v4, 0
	v_mov_b32_e32 v2, v7
	v_mad_u64_u32 v[7:8], s[2:3], s11, v4, v[2:3]
	v_mov_b32_e32 v2, s58
	v_lshlrev_b64 v[6:7], 3, v[6:7]
	v_add_co_u32_e64 v6, s[2:3], s33, v6
	v_addc_co_u32_e64 v7, s[2:3], v2, v7, s[2:3]
	flat_load_dwordx2 v[6:7], v[6:7]
	s_waitcnt vmcnt(0) lgkmcnt(0)
	ds_write_b64 v15, v[6:7]
.LBB11_135:                             ;   in Loop: Header=BB11_133 Depth=1
	s_or_b64 exec, exec, s[8:9]
	v_add_u32_e32 v2, 1, v4
	v_mad_u64_u32 v[8:9], s[2:3], v4, v2, 0
	v_lshlrev_b64 v[10:11], 3, v[4:5]
	v_ashrrev_i32_e32 v7, 31, v4
	v_mov_b32_e32 v6, v4
	v_add_co_u32_e64 v10, s[2:3], s6, v10
	v_lshlrev_b64 v[5:6], 3, v[6:7]
	v_addc_co_u32_e64 v11, s[2:3], v16, v11, s[2:3]
	v_lshlrev_b64 v[8:9], 2, v[8:9]
	v_add_co_u32_e64 v2, s[2:3], s6, v5
	v_addc_co_u32_e64 v7, s[2:3], v16, v6, s[2:3]
	v_and_b32_e32 v5, -8, v8
	v_add_co_u32_e64 v5, s[2:3], v10, v5
	v_addc_co_u32_e64 v6, s[2:3], v11, v9, s[2:3]
	s_or_b64 s[2:3], s[12:13], vcc
	s_movk_i32 s7, 0x1ff
	s_movk_i32 s14, 0x1ff8
	s_xor_b64 s[8:9], s[2:3], -1
	s_waitcnt lgkmcnt(0)
	s_barrier
	s_branch .LBB11_137
.LBB11_136:                             ;   in Loop: Header=BB11_137 Depth=2
	s_or_b64 exec, exec, s[2:3]
	s_add_i32 s7, s7, -1
	s_add_i32 s14, s14, -8
	s_cmp_eq_u32 s7, -1
	s_cbranch_scc1 .LBB11_141
.LBB11_137:                             ;   Parent Loop BB11_133 Depth=1
                                        ; =>  This Inner Loop Header: Depth=2
	v_cmp_eq_u32_e32 vcc, s7, v0
	s_and_b64 s[16:17], vcc, s[8:9]
	s_and_saveexec_b64 s[2:3], s[16:17]
	s_cbranch_execz .LBB11_139
; %bb.138:                              ;   in Loop: Header=BB11_137 Depth=2
	flat_load_dwordx2 v[8:9], v[5:6]
	ds_read_b64 v[10:11], v15
	s_waitcnt vmcnt(0) lgkmcnt(0)
	v_div_scale_f64 v[12:13], s[16:17], v[8:9], v[8:9], v[10:11]
	v_div_scale_f64 v[21:22], vcc, v[10:11], v[8:9], v[10:11]
	v_rcp_f64_e32 v[17:18], v[12:13]
	v_fma_f64 v[19:20], -v[12:13], v[17:18], 1.0
	v_fma_f64 v[17:18], v[17:18], v[19:20], v[17:18]
	v_fma_f64 v[19:20], -v[12:13], v[17:18], 1.0
	v_fma_f64 v[17:18], v[17:18], v[19:20], v[17:18]
	v_mul_f64 v[19:20], v[21:22], v[17:18]
	v_fma_f64 v[12:13], -v[12:13], v[19:20], v[21:22]
	v_div_fmas_f64 v[12:13], v[12:13], v[17:18], v[19:20]
	v_div_fixup_f64 v[8:9], v[12:13], v[8:9], v[10:11]
	ds_write_b64 v15, v[8:9]
.LBB11_139:                             ;   in Loop: Header=BB11_137 Depth=2
	s_or_b64 exec, exec, s[2:3]
	s_add_i32 s16, s27, s7
	s_add_i32 s15, s16, 0xfffffe00
	v_or_b32_e32 v8, s15, v4
	v_cmp_gt_u32_e32 vcc, s7, v0
	v_cmp_lt_i32_e64 s[2:3], -1, v8
	s_and_b64 s[18:19], vcc, s[2:3]
	s_waitcnt lgkmcnt(0)
	s_barrier
	s_and_saveexec_b64 s[2:3], s[18:19]
	s_cbranch_execz .LBB11_136
; %bb.140:                              ;   in Loop: Header=BB11_137 Depth=2
	s_addk_i32 s16, 0xfe01
	s_mul_hi_u32 s17, s16, s15
	s_mul_i32 s16, s16, s15
	s_lshl_b64 s[16:17], s[16:17], 2
	s_and_b32 s15, s16, -8
	v_mov_b32_e32 v9, s17
	v_add_co_u32_e32 v8, vcc, s15, v2
	v_addc_co_u32_e32 v9, vcc, v7, v9, vcc
	flat_load_dwordx2 v[8:9], v[8:9]
	v_mov_b32_e32 v10, s14
	ds_read_b64 v[10:11], v10
	ds_read_b64 v[12:13], v15
	s_waitcnt vmcnt(0) lgkmcnt(0)
	v_fma_f64 v[8:9], -v[8:9], v[10:11], v[12:13]
	ds_write_b64 v15, v[8:9]
	s_branch .LBB11_136
.LBB11_141:                             ;   in Loop: Header=BB11_133 Depth=1
	s_add_i32 s7, s28, 0xfffffe00
	s_cmp_lt_i32 s28, 1
	s_cselect_b64 s[2:3], -1, 0
	s_and_b64 vcc, exec, s[2:3]
	s_waitcnt lgkmcnt(0)
	s_barrier
	s_cbranch_vccnz .LBB11_157
; %bb.142:                              ;   in Loop: Header=BB11_133 Depth=1
	v_mov_b32_e32 v6, v1
	s_mov_b64 s[8:9], 0
	v_mov_b32_e32 v5, v0
	s_mov_b32 s29, s7
                                        ; implicit-def: $sgpr14_sgpr15
	s_branch .LBB11_145
.LBB11_143:                             ;   in Loop: Header=BB11_145 Depth=2
	v_mad_u64_u32 v[9:10], s[18:19], s10, v2, 0
	s_add_i32 s20, s29, 0xfffffe00
	s_cmp_lt_i32 s29, 1
	v_mad_u64_u32 v[10:11], s[18:19], s11, v2, v[10:11]
	v_mov_b32_e32 v2, s58
	s_cselect_b64 s[18:19], -1, 0
	v_lshlrev_b64 v[9:10], 3, v[9:10]
	s_andn2_b64 s[14:15], s[14:15], exec
	v_add_co_u32_e32 v9, vcc, s33, v9
	v_addc_co_u32_e32 v10, vcc, v2, v10, vcc
	flat_load_dwordx2 v[11:12], v[9:10]
	v_add_co_u32_e32 v5, vcc, 0xfffffe00, v5
	s_and_b64 s[18:19], s[18:19], exec
	v_addc_co_u32_e32 v6, vcc, -1, v6, vcc
	s_or_b64 s[14:15], s[14:15], s[18:19]
	s_mov_b32 s29, s20
	s_waitcnt vmcnt(0) lgkmcnt(0)
	v_add_f64 v[7:8], v[11:12], -v[7:8]
	flat_store_dwordx2 v[9:10], v[7:8]
.LBB11_144:                             ;   in Loop: Header=BB11_145 Depth=2
	s_or_b64 exec, exec, s[16:17]
	s_and_b64 s[16:17], exec, s[14:15]
	s_or_b64 s[8:9], s[16:17], s[8:9]
	s_andn2_b64 exec, exec, s[8:9]
	s_cbranch_execz .LBB11_156
.LBB11_145:                             ;   Parent Loop BB11_133 Depth=1
                                        ; =>  This Loop Header: Depth=2
                                        ;       Child Loop BB11_148 Depth 3
	v_add_u32_e32 v2, s29, v0
	v_cmp_lt_i32_e32 vcc, -1, v2
	s_or_b64 s[14:15], s[14:15], exec
	s_and_saveexec_b64 s[16:17], vcc
	s_cbranch_execz .LBB11_144
; %bb.146:                              ;   in Loop: Header=BB11_145 Depth=2
	v_lshlrev_b64 v[7:8], 3, v[2:3]
	s_movk_i32 s30, 0x1000
	v_add_co_u32_e32 v17, vcc, s6, v7
	v_addc_co_u32_e32 v18, vcc, v16, v8, vcc
	v_mov_b32_e32 v7, 0
	v_add_co_u32_e32 v19, vcc, 0xfffffdff, v5
	v_add_co_u32_e32 v20, vcc, 0xfffffe00, v5
	v_mov_b32_e32 v8, 0
	s_mov_b64 s[18:19], 0
	s_branch .LBB11_148
.LBB11_147:                             ;   in Loop: Header=BB11_148 Depth=3
	s_or_b64 exec, exec, s[20:21]
	s_waitcnt lgkmcnt(0)
	v_add_f64 v[7:8], v[7:8], v[9:10]
	s_add_i32 s30, s30, 16
	s_add_u32 s18, s18, 2
	s_addc_u32 s19, s19, 0
	s_cmpk_eq_i32 s18, 0x200
	v_add_f64 v[7:8], v[7:8], v[13:14]
	s_cbranch_scc1 .LBB11_143
.LBB11_148:                             ;   Parent Loop BB11_133 Depth=1
                                        ;     Parent Loop BB11_145 Depth=2
                                        ; =>    This Inner Loop Header: Depth=3
	v_cmp_ne_u32_e32 vcc, s18, v20
	s_or_b64 s[24:25], s[4:5], vcc
                                        ; implicit-def: $vgpr9_vgpr10
                                        ; implicit-def: $sgpr20_sgpr21
                                        ; implicit-def: $sgpr22_sgpr23
	s_and_saveexec_b64 s[34:35], s[24:25]
	s_xor_b64 s[24:25], exec, s[34:35]
	s_cbranch_execz .LBB11_150
; %bb.149:                              ;   in Loop: Header=BB11_148 Depth=3
	s_add_u32 s20, s27, s18
	s_addc_u32 s21, s26, s19
	s_add_u32 s22, s20, 0xfffffe01
	s_addc_u32 s23, s21, 0
	;; [unrolled: 2-line block ×3, first 2 shown]
	s_mul_i32 s34, s22, s34
	s_mul_hi_u32 s35, s22, s31
	s_add_i32 s35, s35, s34
	s_mul_i32 s34, s22, s31
	s_lshl_b64 s[34:35], s[34:35], 2
	s_and_b32 s31, s34, -8
	v_mov_b32_e32 v10, s35
	v_add_co_u32_e32 v9, vcc, s31, v17
	v_addc_co_u32_e32 v10, vcc, v18, v10, vcc
	flat_load_dwordx2 v[9:10], v[9:10]
	v_mov_b32_e32 v11, s30
	ds_read_b64 v[11:12], v11
	s_waitcnt vmcnt(0) lgkmcnt(0)
	v_mul_f64 v[9:10], v[9:10], v[11:12]
.LBB11_150:                             ;   in Loop: Header=BB11_148 Depth=3
	s_or_saveexec_b64 s[24:25], s[24:25]
	v_mov_b32_e32 v11, s22
	v_mov_b32_e32 v12, s23
	;; [unrolled: 1-line block ×4, first 2 shown]
	s_xor_b64 exec, exec, s[24:25]
	s_cbranch_execz .LBB11_152
; %bb.151:                              ;   in Loop: Header=BB11_148 Depth=3
	v_mov_b32_e32 v9, s30
	s_add_u32 s20, s27, s18
	ds_read_b64 v[9:10], v9
	s_addc_u32 s21, s26, s19
	s_add_u32 s22, s20, 0xfffffe01
	s_addc_u32 s23, s21, 0
	v_mov_b32_e32 v11, s22
	v_mov_b32_e32 v12, s23
	;; [unrolled: 1-line block ×4, first 2 shown]
.LBB11_152:                             ;   in Loop: Header=BB11_148 Depth=3
	s_or_b64 exec, exec, s[24:25]
	v_cmp_ne_u32_e32 vcc, s18, v19
	s_or_b64 s[20:21], s[4:5], vcc
                                        ; implicit-def: $vgpr13_vgpr14
	s_and_saveexec_b64 s[22:23], s[20:21]
	s_xor_b64 s[20:21], exec, s[22:23]
	s_cbranch_execz .LBB11_154
; %bb.153:                              ;   in Loop: Header=BB11_148 Depth=3
	v_add_u32_e32 v12, 0xfffffe02, v12
	v_mad_u64_u32 v[11:12], s[22:23], v12, v11, 0
	v_mov_b32_e32 v13, s30
	ds_read_b64 v[13:14], v13 offset:8
	v_lshlrev_b64 v[11:12], 2, v[11:12]
	v_and_b32_e32 v11, -8, v11
	v_add_co_u32_e32 v11, vcc, v17, v11
	v_addc_co_u32_e32 v12, vcc, v18, v12, vcc
	flat_load_dwordx2 v[11:12], v[11:12]
	s_waitcnt vmcnt(0) lgkmcnt(0)
	v_mul_f64 v[13:14], v[11:12], v[13:14]
.LBB11_154:                             ;   in Loop: Header=BB11_148 Depth=3
	s_andn2_saveexec_b64 s[20:21], s[20:21]
	s_cbranch_execz .LBB11_147
; %bb.155:                              ;   in Loop: Header=BB11_148 Depth=3
	v_mov_b32_e32 v11, s30
	ds_read_b64 v[13:14], v11 offset:8
	s_branch .LBB11_147
.LBB11_156:                             ;   in Loop: Header=BB11_133 Depth=1
	s_or_b64 exec, exec, s[8:9]
.LBB11_157:                             ;   in Loop: Header=BB11_133 Depth=1
	s_and_saveexec_b64 s[8:9], s[0:1]
	s_cbranch_execz .LBB11_132
; %bb.158:                              ;   in Loop: Header=BB11_133 Depth=1
	v_mad_u64_u32 v[5:6], s[0:1], s10, v4, 0
	v_mov_b32_e32 v2, v6
	v_mad_u64_u32 v[6:7], s[0:1], s11, v4, v[2:3]
	ds_read_b64 v[7:8], v15
	v_mov_b32_e32 v2, s58
	v_lshlrev_b64 v[4:5], 3, v[5:6]
	v_add_co_u32_e32 v4, vcc, s33, v4
	v_addc_co_u32_e32 v5, vcc, v2, v5, vcc
	s_waitcnt lgkmcnt(0)
	flat_store_dwordx2 v[4:5], v[7:8]
	s_branch .LBB11_132
.LBB11_159:
	s_endpgm
	.section	.rodata,"a",@progbits
	.p2align	6, 0x0
	.amdhsa_kernel _ZL19rocblas_tpsv_kernelILb0ELi512EPKPKdPKPdEv18rocblas_operation_bbiT1_llT2_lll
		.amdhsa_group_segment_fixed_size 8192
		.amdhsa_private_segment_fixed_size 0
		.amdhsa_kernarg_size 72
		.amdhsa_user_sgpr_count 6
		.amdhsa_user_sgpr_private_segment_buffer 1
		.amdhsa_user_sgpr_dispatch_ptr 0
		.amdhsa_user_sgpr_queue_ptr 0
		.amdhsa_user_sgpr_kernarg_segment_ptr 1
		.amdhsa_user_sgpr_dispatch_id 0
		.amdhsa_user_sgpr_flat_scratch_init 0
		.amdhsa_user_sgpr_private_segment_size 0
		.amdhsa_uses_dynamic_stack 0
		.amdhsa_system_sgpr_private_segment_wavefront_offset 0
		.amdhsa_system_sgpr_workgroup_id_x 1
		.amdhsa_system_sgpr_workgroup_id_y 0
		.amdhsa_system_sgpr_workgroup_id_z 0
		.amdhsa_system_sgpr_workgroup_info 0
		.amdhsa_system_vgpr_workitem_id 0
		.amdhsa_next_free_vgpr 30
		.amdhsa_next_free_sgpr 64
		.amdhsa_reserve_vcc 1
		.amdhsa_reserve_flat_scratch 0
		.amdhsa_float_round_mode_32 0
		.amdhsa_float_round_mode_16_64 0
		.amdhsa_float_denorm_mode_32 3
		.amdhsa_float_denorm_mode_16_64 3
		.amdhsa_dx10_clamp 1
		.amdhsa_ieee_mode 1
		.amdhsa_fp16_overflow 0
		.amdhsa_exception_fp_ieee_invalid_op 0
		.amdhsa_exception_fp_denorm_src 0
		.amdhsa_exception_fp_ieee_div_zero 0
		.amdhsa_exception_fp_ieee_overflow 0
		.amdhsa_exception_fp_ieee_underflow 0
		.amdhsa_exception_fp_ieee_inexact 0
		.amdhsa_exception_int_div_zero 0
	.end_amdhsa_kernel
	.section	.text._ZL19rocblas_tpsv_kernelILb0ELi512EPKPKdPKPdEv18rocblas_operation_bbiT1_llT2_lll,"axG",@progbits,_ZL19rocblas_tpsv_kernelILb0ELi512EPKPKdPKPdEv18rocblas_operation_bbiT1_llT2_lll,comdat
.Lfunc_end11:
	.size	_ZL19rocblas_tpsv_kernelILb0ELi512EPKPKdPKPdEv18rocblas_operation_bbiT1_llT2_lll, .Lfunc_end11-_ZL19rocblas_tpsv_kernelILb0ELi512EPKPKdPKPdEv18rocblas_operation_bbiT1_llT2_lll
                                        ; -- End function
	.set _ZL19rocblas_tpsv_kernelILb0ELi512EPKPKdPKPdEv18rocblas_operation_bbiT1_llT2_lll.num_vgpr, 30
	.set _ZL19rocblas_tpsv_kernelILb0ELi512EPKPKdPKPdEv18rocblas_operation_bbiT1_llT2_lll.num_agpr, 0
	.set _ZL19rocblas_tpsv_kernelILb0ELi512EPKPKdPKPdEv18rocblas_operation_bbiT1_llT2_lll.numbered_sgpr, 64
	.set _ZL19rocblas_tpsv_kernelILb0ELi512EPKPKdPKPdEv18rocblas_operation_bbiT1_llT2_lll.num_named_barrier, 0
	.set _ZL19rocblas_tpsv_kernelILb0ELi512EPKPKdPKPdEv18rocblas_operation_bbiT1_llT2_lll.private_seg_size, 0
	.set _ZL19rocblas_tpsv_kernelILb0ELi512EPKPKdPKPdEv18rocblas_operation_bbiT1_llT2_lll.uses_vcc, 1
	.set _ZL19rocblas_tpsv_kernelILb0ELi512EPKPKdPKPdEv18rocblas_operation_bbiT1_llT2_lll.uses_flat_scratch, 0
	.set _ZL19rocblas_tpsv_kernelILb0ELi512EPKPKdPKPdEv18rocblas_operation_bbiT1_llT2_lll.has_dyn_sized_stack, 0
	.set _ZL19rocblas_tpsv_kernelILb0ELi512EPKPKdPKPdEv18rocblas_operation_bbiT1_llT2_lll.has_recursion, 0
	.set _ZL19rocblas_tpsv_kernelILb0ELi512EPKPKdPKPdEv18rocblas_operation_bbiT1_llT2_lll.has_indirect_call, 0
	.section	.AMDGPU.csdata,"",@progbits
; Kernel info:
; codeLenInByte = 6324
; TotalNumSgprs: 68
; NumVgprs: 30
; ScratchSize: 0
; MemoryBound: 0
; FloatMode: 240
; IeeeMode: 1
; LDSByteSize: 8192 bytes/workgroup (compile time only)
; SGPRBlocks: 8
; VGPRBlocks: 7
; NumSGPRsForWavesPerEU: 68
; NumVGPRsForWavesPerEU: 30
; Occupancy: 8
; WaveLimiterHint : 1
; COMPUTE_PGM_RSRC2:SCRATCH_EN: 0
; COMPUTE_PGM_RSRC2:USER_SGPR: 6
; COMPUTE_PGM_RSRC2:TRAP_HANDLER: 0
; COMPUTE_PGM_RSRC2:TGID_X_EN: 1
; COMPUTE_PGM_RSRC2:TGID_Y_EN: 0
; COMPUTE_PGM_RSRC2:TGID_Z_EN: 0
; COMPUTE_PGM_RSRC2:TIDIG_COMP_CNT: 0
	.section	.text._ZL19rocblas_tpsv_kernelILb1ELi512EPKPK19rocblas_complex_numIfEPKPS1_Ev18rocblas_operation_bbiT1_llT2_lll,"axG",@progbits,_ZL19rocblas_tpsv_kernelILb1ELi512EPKPK19rocblas_complex_numIfEPKPS1_Ev18rocblas_operation_bbiT1_llT2_lll,comdat
	.globl	_ZL19rocblas_tpsv_kernelILb1ELi512EPKPK19rocblas_complex_numIfEPKPS1_Ev18rocblas_operation_bbiT1_llT2_lll ; -- Begin function _ZL19rocblas_tpsv_kernelILb1ELi512EPKPK19rocblas_complex_numIfEPKPS1_Ev18rocblas_operation_bbiT1_llT2_lll
	.p2align	8
	.type	_ZL19rocblas_tpsv_kernelILb1ELi512EPKPK19rocblas_complex_numIfEPKPS1_Ev18rocblas_operation_bbiT1_llT2_lll,@function
_ZL19rocblas_tpsv_kernelILb1ELi512EPKPK19rocblas_complex_numIfEPKPS1_Ev18rocblas_operation_bbiT1_llT2_lll: ; @_ZL19rocblas_tpsv_kernelILb1ELi512EPKPK19rocblas_complex_numIfEPKPS1_Ev18rocblas_operation_bbiT1_llT2_lll
; %bb.0:
	s_load_dwordx2 s[22:23], s[4:5], 0x0
	s_load_dwordx2 s[14:15], s[4:5], 0x4
	s_load_dwordx4 s[0:3], s[4:5], 0x10
	s_load_dwordx2 s[24:25], s[4:5], 0x28
	s_mov_b32 s7, 0
	s_waitcnt lgkmcnt(0)
	s_bitcmp1_b32 s23, 0
	s_cselect_b64 s[8:9], -1, 0
	s_xor_b64 s[20:21], s[8:9], -1
	s_bitcmp1_b32 s14, 8
	s_cselect_b64 s[12:13], -1, 0
	s_lshl_b64 s[26:27], s[6:7], 3
	s_add_u32 s0, s0, s26
	s_addc_u32 s1, s1, s27
	s_load_dwordx2 s[16:17], s[0:1], 0x0
	s_load_dwordx4 s[8:11], s[4:5], 0x30
	s_lshl_b64 s[18:19], s[2:3], 3
	s_waitcnt lgkmcnt(0)
	s_add_u32 s6, s16, s18
	s_addc_u32 s7, s17, s19
	s_add_u32 s0, s24, s26
	s_addc_u32 s1, s25, s27
	s_load_dwordx2 s[0:1], s[0:1], 0x0
	s_lshl_b64 s[2:3], s[8:9], 3
	s_waitcnt lgkmcnt(0)
	s_add_u32 s33, s0, s2
	s_addc_u32 s58, s1, s3
	s_cmp_gt_i32 s15, 0
	s_cselect_b64 s[8:9], -1, 0
	s_cmpk_lg_i32 s22, 0x6f
	s_mov_b64 s[0:1], -1
	s_cbranch_scc0 .LBB12_92
; %bb.1:
	s_and_b64 vcc, exec, s[20:21]
	s_cbranch_vccz .LBB12_44
; %bb.2:
	s_andn2_b64 vcc, exec, s[8:9]
	s_cbranch_vccnz .LBB12_43
; %bb.3:
	v_lshlrev_b32_e32 v1, 3, v0
	v_or_b32_e32 v13, 0x3000, v1
	v_mov_b32_e32 v2, s19
	v_sub_co_u32_e32 v1, vcc, s18, v1
	v_subbrev_co_u32_e32 v2, vcc, 0, v2, vcc
	v_mov_b32_e32 v3, s17
	v_add_co_u32_e32 v1, vcc, s16, v1
	v_addc_co_u32_e32 v2, vcc, v3, v2, vcc
	s_movk_i32 s0, 0xffc
	s_lshl_b32 s2, s15, 1
	v_add_co_u32_e32 v14, vcc, s0, v1
	s_ashr_i32 s1, s15, 31
	s_mov_b32 s0, s15
	s_add_i32 s28, s15, 0xfffffe00
	s_or_b32 s14, s2, 1
	s_lshl_b64 s[0:1], s[0:1], 3
	s_add_u32 s0, s18, s0
	s_addc_u32 s1, s19, s1
	s_add_u32 s0, s16, s0
	v_sub_u32_e32 v1, s15, v0
	s_addc_u32 s1, s17, s1
	v_add_u32_e32 v16, 0x201, v1
	v_add_u32_e32 v1, s15, v0
	s_add_u32 s4, s0, 0xfffff000
	v_addc_co_u32_e32 v15, vcc, 0, v2, vcc
	v_add_u32_e32 v17, 0xfffffe00, v1
	s_addc_u32 s5, s1, -1
	v_add_u32_e32 v18, 0xfffffc00, v1
	s_ashr_i32 s34, s2, 31
	v_mov_b32_e32 v19, s7
	s_movk_i32 s35, 0x400
	s_movk_i32 s36, 0x401
	;; [unrolled: 1-line block ×5, first 2 shown]
	s_branch .LBB12_5
.LBB12_4:                               ;   in Loop: Header=BB12_5 Depth=1
	s_or_b64 exec, exec, s[22:23]
	s_add_u32 s4, s4, 0xfffff000
	v_add_u32_e32 v16, 0x200, v16
	v_add_u32_e32 v17, 0xfffffe00, v17
	s_addc_u32 s5, s5, -1
	v_add_u32_e32 v18, 0xfffffe00, v18
	s_andn2_b64 vcc, exec, s[2:3]
	s_mov_b32 s28, s40
	s_waitcnt vmcnt(0) lgkmcnt(0)
	s_barrier
	s_cbranch_vccz .LBB12_43
.LBB12_5:                               ; =>This Loop Header: Depth=1
                                        ;     Child Loop BB12_9 Depth 2
                                        ;     Child Loop BB12_21 Depth 2
                                        ;       Child Loop BB12_24 Depth 3
	v_add_u32_e32 v20, s28, v0
	v_cmp_gt_i32_e32 vcc, 0, v20
	v_cmp_lt_i32_e64 s[0:1], -1, v20
	s_and_saveexec_b64 s[22:23], s[0:1]
	s_cbranch_execz .LBB12_7
; %bb.6:                                ;   in Loop: Header=BB12_5 Depth=1
	v_mad_u64_u32 v[1:2], s[2:3], s10, v20, 0
	v_mad_u64_u32 v[2:3], s[2:3], s11, v20, v[2:3]
	v_mov_b32_e32 v3, s58
	v_lshlrev_b64 v[1:2], 3, v[1:2]
	v_add_co_u32_e64 v1, s[2:3], s33, v1
	v_addc_co_u32_e64 v2, s[2:3], v3, v2, s[2:3]
	flat_load_dwordx2 v[1:2], v[1:2]
	s_waitcnt vmcnt(0) lgkmcnt(0)
	ds_write_b64 v13, v[1:2]
.LBB12_7:                               ;   in Loop: Header=BB12_5 Depth=1
	s_or_b64 exec, exec, s[22:23]
	v_mad_u64_u32 v[1:2], s[2:3], v16, v17, 0
	v_ashrrev_i32_e32 v3, 31, v16
	v_sub_u32_e32 v5, s14, v20
	v_mad_u64_u32 v[2:3], s[2:3], v3, v17, v[2:3]
	v_mad_u64_u32 v[3:4], s[2:3], v5, v20, 0
	v_lshlrev_b64 v[1:2], 2, v[1:2]
	s_movk_i32 s29, 0x1ff
	v_and_b32_e32 v1, -8, v1
	v_add_co_u32_e64 v9, s[2:3], v14, v1
	v_addc_co_u32_e64 v10, s[2:3], v15, v2, s[2:3]
	v_ashrrev_i32_e32 v2, 31, v5
	v_mov_b32_e32 v1, v4
	v_mad_u64_u32 v[1:2], s[2:3], v2, v20, v[1:2]
	s_not_b32 s2, s28
	v_max_i32_e32 v11, s2, v0
	v_mov_b32_e32 v4, v1
	v_lshlrev_b64 v[1:2], 2, v[3:4]
	s_movk_i32 s30, 0x3ff8
	v_and_b32_e32 v1, -8, v1
	v_add_co_u32_e64 v1, s[2:3], s6, v1
	v_addc_co_u32_e64 v2, s[2:3], v19, v2, s[2:3]
	s_or_b64 s[2:3], vcc, s[12:13]
	s_xor_b64 s[2:3], s[2:3], -1
	s_xor_b64 s[22:23], vcc, -1
	s_waitcnt lgkmcnt(0)
	s_barrier
	s_branch .LBB12_9
.LBB12_8:                               ;   in Loop: Header=BB12_9 Depth=2
	s_or_b64 exec, exec, s[24:25]
	s_add_i32 s29, s29, -1
	s_add_i32 s30, s30, -8
	v_add_co_u32_e32 v9, vcc, -8, v9
	s_cmp_eq_u32 s29, -1
	v_addc_co_u32_e32 v10, vcc, -1, v10, vcc
	s_cbranch_scc1 .LBB12_17
.LBB12_9:                               ;   Parent Loop BB12_5 Depth=1
                                        ; =>  This Inner Loop Header: Depth=2
	v_cmp_eq_u32_e32 vcc, s29, v0
	s_and_b64 s[26:27], vcc, s[2:3]
	s_and_saveexec_b64 s[24:25], s[26:27]
	s_cbranch_execz .LBB12_15
; %bb.10:                               ;   in Loop: Header=BB12_9 Depth=2
	flat_load_dwordx2 v[5:6], v[1:2]
	ds_read_b64 v[3:4], v13
                                        ; implicit-def: $vgpr7
	s_waitcnt vmcnt(0) lgkmcnt(0)
	v_cmp_ngt_f32_e64 s[26:27], |v5|, |v6|
	s_and_saveexec_b64 s[40:41], s[26:27]
	s_xor_b64 s[26:27], exec, s[40:41]
	s_cbranch_execz .LBB12_12
; %bb.11:                               ;   in Loop: Header=BB12_9 Depth=2
	v_div_scale_f32 v7, s[40:41], -v6, -v6, v5
	v_div_scale_f32 v8, vcc, v5, -v6, v5
	v_rcp_f32_e32 v12, v7
	v_fma_f32 v21, -v7, v12, 1.0
	v_fmac_f32_e32 v12, v21, v12
	v_mul_f32_e32 v21, v8, v12
	v_fma_f32 v22, -v7, v21, v8
	v_fmac_f32_e32 v21, v22, v12
	v_fma_f32 v7, -v7, v21, v8
	v_div_fmas_f32 v7, v7, v12, v21
	v_div_fixup_f32 v7, v7, -v6, v5
	v_fma_f32 v5, v5, v7, -v6
	v_div_scale_f32 v6, s[40:41], v5, v5, 1.0
	v_div_scale_f32 v8, vcc, 1.0, v5, 1.0
	v_rcp_f32_e32 v12, v6
	v_fma_f32 v21, -v6, v12, 1.0
	v_fmac_f32_e32 v12, v21, v12
	v_mul_f32_e32 v21, v8, v12
	v_fma_f32 v22, -v6, v21, v8
	v_fmac_f32_e32 v21, v22, v12
	v_fma_f32 v6, -v6, v21, v8
	v_div_fmas_f32 v6, v6, v12, v21
	v_fma_f32 v8, v7, v3, v4
	v_fma_f32 v3, v7, v4, -v3
	v_div_fixup_f32 v4, v6, v5, 1.0
	v_mul_f32_e32 v7, v4, v8
	v_mul_f32_e32 v8, v4, v3
                                        ; implicit-def: $vgpr5_vgpr6
                                        ; implicit-def: $vgpr3_vgpr4
.LBB12_12:                              ;   in Loop: Header=BB12_9 Depth=2
	s_andn2_saveexec_b64 s[26:27], s[26:27]
	s_cbranch_execz .LBB12_14
; %bb.13:                               ;   in Loop: Header=BB12_9 Depth=2
	v_div_scale_f32 v7, s[40:41], v5, v5, -v6
	v_div_scale_f32 v8, vcc, -v6, v5, -v6
	v_rcp_f32_e32 v12, v7
	v_fma_f32 v21, -v7, v12, 1.0
	v_fmac_f32_e32 v12, v21, v12
	v_mul_f32_e32 v21, v8, v12
	v_fma_f32 v22, -v7, v21, v8
	v_fmac_f32_e32 v21, v22, v12
	v_fma_f32 v7, -v7, v21, v8
	v_div_fmas_f32 v7, v7, v12, v21
	v_div_fixup_f32 v7, v7, v5, -v6
	v_fma_f32 v5, -v6, v7, v5
	v_div_scale_f32 v6, s[40:41], v5, v5, 1.0
	v_div_scale_f32 v8, vcc, 1.0, v5, 1.0
	v_rcp_f32_e32 v12, v6
	v_fma_f32 v21, -v6, v12, 1.0
	v_fmac_f32_e32 v12, v21, v12
	v_mul_f32_e32 v21, v8, v12
	v_fma_f32 v22, -v6, v21, v8
	v_fmac_f32_e32 v21, v22, v12
	v_fma_f32 v6, -v6, v21, v8
	v_div_fmas_f32 v6, v6, v12, v21
	v_fma_f32 v8, v7, v4, v3
	v_fma_f32 v3, -v7, v3, v4
	v_div_fixup_f32 v4, v6, v5, 1.0
	v_mul_f32_e32 v7, v4, v8
	v_mul_f32_e32 v8, v4, v3
.LBB12_14:                              ;   in Loop: Header=BB12_9 Depth=2
	s_or_b64 exec, exec, s[26:27]
	ds_write_b64 v13, v[7:8]
.LBB12_15:                              ;   in Loop: Header=BB12_9 Depth=2
	s_or_b64 exec, exec, s[24:25]
	v_cmp_gt_u32_e32 vcc, s29, v11
	s_and_b64 s[26:27], s[22:23], vcc
	s_waitcnt lgkmcnt(0)
	s_barrier
	s_and_saveexec_b64 s[24:25], s[26:27]
	s_cbranch_execz .LBB12_8
; %bb.16:                               ;   in Loop: Header=BB12_9 Depth=2
	v_add_co_u32_e32 v3, vcc, -4, v9
	v_addc_co_u32_e32 v4, vcc, -1, v10, vcc
	flat_load_dwordx2 v[3:4], v[3:4]
	v_mov_b32_e32 v5, s30
	ds_read_b64 v[5:6], v5
	ds_read_b64 v[7:8], v13
	s_waitcnt vmcnt(0) lgkmcnt(0)
	v_mul_f32_e32 v12, v4, v6
	v_mul_f32_e32 v4, v4, v5
	v_fmac_f32_e32 v12, v3, v5
	v_fma_f32 v4, v3, v6, -v4
	v_sub_f32_e32 v3, v7, v12
	v_sub_f32_e32 v4, v8, v4
	ds_write_b64 v13, v[3:4]
	s_branch .LBB12_8
.LBB12_17:                              ;   in Loop: Header=BB12_5 Depth=1
	s_add_i32 s40, s28, 0xfffffe00
	s_cmp_lt_i32 s28, 1
	s_cselect_b64 s[2:3], -1, 0
	s_and_b64 vcc, exec, s[2:3]
	s_waitcnt lgkmcnt(0)
	s_barrier
	s_cbranch_vccnz .LBB12_41
; %bb.18:                               ;   in Loop: Header=BB12_5 Depth=1
	v_mad_i64_i32 v[1:2], s[22:23], v18, -8, s[4:5]
	v_ashrrev_i32_e32 v3, 31, v18
	v_mov_b32_e32 v4, s34
	v_sub_co_u32_e32 v21, vcc, s14, v18
	v_subb_co_u32_e32 v22, vcc, v4, v3, vcc
	s_mov_b64 s[22:23], 0
	v_mov_b32_e32 v23, v18
	v_mov_b32_e32 v24, v0
	s_mov_b32 s41, s40
                                        ; implicit-def: $sgpr24_sgpr25
	s_branch .LBB12_21
.LBB12_19:                              ;   in Loop: Header=BB12_21 Depth=2
	v_mad_u64_u32 v[3:4], s[28:29], s10, v26, 0
	s_add_i32 s30, s41, 0xfffffe00
	s_cmp_lt_i32 s41, 1
	v_mad_u64_u32 v[4:5], s[28:29], s11, v26, v[4:5]
	v_mov_b32_e32 v5, s58
	s_cselect_b64 s[28:29], -1, 0
	v_lshlrev_b64 v[3:4], 3, v[3:4]
	s_andn2_b64 s[24:25], s[24:25], exec
	v_add_co_u32_e32 v3, vcc, s33, v3
	v_addc_co_u32_e32 v4, vcc, v5, v4, vcc
	flat_load_dwordx2 v[5:6], v[3:4]
	v_add_co_u32_e32 v1, vcc, s39, v1
	v_addc_co_u32_e32 v2, vcc, 0, v2, vcc
	v_add_co_u32_e32 v21, vcc, 0x200, v21
	s_and_b64 s[28:29], s[28:29], exec
	v_add_u32_e32 v24, 0xfffffe00, v24
	v_add_u32_e32 v23, 0xfffffe00, v23
	v_addc_co_u32_e32 v22, vcc, 0, v22, vcc
	s_or_b64 s[24:25], s[24:25], s[28:29]
	s_mov_b32 s41, s30
	s_waitcnt vmcnt(0) lgkmcnt(0)
	v_sub_f32_e32 v5, v5, v27
	v_sub_f32_e32 v6, v6, v25
	flat_store_dwordx2 v[3:4], v[5:6]
.LBB12_20:                              ;   in Loop: Header=BB12_21 Depth=2
	s_or_b64 exec, exec, s[26:27]
	s_and_b64 s[26:27], exec, s[24:25]
	s_or_b64 s[22:23], s[26:27], s[22:23]
	s_andn2_b64 exec, exec, s[22:23]
	s_cbranch_execz .LBB12_40
.LBB12_21:                              ;   Parent Loop BB12_5 Depth=1
                                        ; =>  This Loop Header: Depth=2
                                        ;       Child Loop BB12_24 Depth 3
	v_add_u32_e32 v26, s41, v0
	v_cmp_lt_i32_e32 vcc, -1, v26
	s_or_b64 s[24:25], s[24:25], exec
	s_and_saveexec_b64 s[26:27], vcc
	s_cbranch_execz .LBB12_20
; %bb.22:                               ;   in Loop: Header=BB12_21 Depth=2
	v_mad_u64_u32 v[3:4], s[28:29], v21, v23, 0
	v_mov_b32_e32 v25, 0
	s_movk_i32 s42, 0x3000
	v_mad_u64_u32 v[4:5], s[28:29], v22, v23, v[4:5]
	s_movk_i32 s43, 0x200
	v_mov_b32_e32 v27, 0
	v_lshlrev_b64 v[3:4], 2, v[3:4]
	v_and_b32_e32 v3, -8, v3
	v_add_co_u32_e32 v3, vcc, v1, v3
	v_addc_co_u32_e32 v4, vcc, v2, v4, vcc
	s_branch .LBB12_24
.LBB12_23:                              ;   in Loop: Header=BB12_24 Depth=3
	s_or_b64 exec, exec, s[28:29]
	s_waitcnt lgkmcnt(0)
	v_add_f32_e32 v6, v25, v6
	v_add_f32_e32 v5, v27, v5
	v_add_f32_e32 v6, v6, v8
	v_add_f32_e32 v5, v5, v7
	v_add_f32_e32 v6, v6, v10
	v_add_f32_e32 v5, v5, v9
	s_add_i32 s42, s42, 32
	s_add_i32 s43, s43, -4
	v_add_co_u32_e32 v3, vcc, 32, v3
	v_add_f32_e32 v25, v6, v12
	v_add_f32_e32 v27, v5, v11
	s_cmp_eq_u32 s43, 0
	v_addc_co_u32_e32 v4, vcc, 0, v4, vcc
	s_cbranch_scc1 .LBB12_19
.LBB12_24:                              ;   Parent Loop BB12_5 Depth=1
                                        ;     Parent Loop BB12_21 Depth=2
                                        ; =>    This Inner Loop Header: Depth=3
	v_add_u32_e32 v11, s43, v24
	v_cmp_ne_u32_e32 vcc, s35, v11
	s_xor_b64 s[28:29], s[12:13], -1
	s_or_b64 s[30:31], s[28:29], vcc
                                        ; implicit-def: $vgpr6
	s_and_saveexec_b64 s[44:45], s[30:31]
	s_xor_b64 s[30:31], exec, s[44:45]
	s_cbranch_execz .LBB12_26
; %bb.25:                               ;   in Loop: Header=BB12_24 Depth=3
	flat_load_dwordx2 v[6:7], v[3:4]
	v_mov_b32_e32 v5, s42
	ds_read_b64 v[8:9], v5
	s_waitcnt vmcnt(0) lgkmcnt(0)
	v_mul_f32_e32 v5, v7, v9
	v_mul_f32_e32 v7, v7, v8
	v_fmac_f32_e32 v5, v6, v8
	v_fma_f32 v6, v6, v9, -v7
.LBB12_26:                              ;   in Loop: Header=BB12_24 Depth=3
	s_andn2_saveexec_b64 s[30:31], s[30:31]
; %bb.27:                               ;   in Loop: Header=BB12_24 Depth=3
	v_mov_b32_e32 v5, s42
	ds_read_b64 v[5:6], v5
; %bb.28:                               ;   in Loop: Header=BB12_24 Depth=3
	s_or_b64 exec, exec, s[30:31]
	v_cmp_ne_u32_e32 vcc, s36, v11
	s_or_b64 s[30:31], s[28:29], vcc
                                        ; implicit-def: $vgpr8
	s_and_saveexec_b64 s[44:45], s[30:31]
	s_xor_b64 s[30:31], exec, s[44:45]
	s_cbranch_execz .LBB12_30
; %bb.29:                               ;   in Loop: Header=BB12_24 Depth=3
	flat_load_dwordx2 v[8:9], v[3:4] offset:8
	v_mov_b32_e32 v7, s42
	ds_read_b64 v[28:29], v7 offset:8
	s_waitcnt vmcnt(0) lgkmcnt(0)
	v_mul_f32_e32 v7, v9, v29
	v_mul_f32_e32 v9, v9, v28
	v_fmac_f32_e32 v7, v8, v28
	v_fma_f32 v8, v8, v29, -v9
.LBB12_30:                              ;   in Loop: Header=BB12_24 Depth=3
	s_andn2_saveexec_b64 s[30:31], s[30:31]
; %bb.31:                               ;   in Loop: Header=BB12_24 Depth=3
	v_mov_b32_e32 v7, s42
	ds_read_b64 v[7:8], v7 offset:8
; %bb.32:                               ;   in Loop: Header=BB12_24 Depth=3
	s_or_b64 exec, exec, s[30:31]
	v_cmp_ne_u32_e32 vcc, s37, v11
	s_or_b64 s[30:31], s[28:29], vcc
                                        ; implicit-def: $vgpr10
	s_and_saveexec_b64 s[44:45], s[30:31]
	s_xor_b64 s[30:31], exec, s[44:45]
	s_cbranch_execz .LBB12_34
; %bb.33:                               ;   in Loop: Header=BB12_24 Depth=3
	flat_load_dwordx2 v[28:29], v[3:4] offset:16
	v_mov_b32_e32 v9, s42
	ds_read_b64 v[30:31], v9 offset:16
	s_waitcnt vmcnt(0) lgkmcnt(0)
	v_mul_f32_e32 v9, v29, v31
	v_mul_f32_e32 v10, v29, v30
	v_fmac_f32_e32 v9, v28, v30
	v_fma_f32 v10, v28, v31, -v10
.LBB12_34:                              ;   in Loop: Header=BB12_24 Depth=3
	s_andn2_saveexec_b64 s[30:31], s[30:31]
; %bb.35:                               ;   in Loop: Header=BB12_24 Depth=3
	v_mov_b32_e32 v9, s42
	ds_read_b64 v[9:10], v9 offset:16
; %bb.36:                               ;   in Loop: Header=BB12_24 Depth=3
	s_or_b64 exec, exec, s[30:31]
	v_cmp_ne_u32_e32 vcc, s38, v11
	s_or_b64 s[28:29], s[28:29], vcc
                                        ; implicit-def: $vgpr12
	s_and_saveexec_b64 s[30:31], s[28:29]
	s_xor_b64 s[28:29], exec, s[30:31]
	s_cbranch_execz .LBB12_38
; %bb.37:                               ;   in Loop: Header=BB12_24 Depth=3
	flat_load_dwordx2 v[28:29], v[3:4] offset:24
	v_mov_b32_e32 v11, s42
	ds_read_b64 v[30:31], v11 offset:24
	s_waitcnt vmcnt(0) lgkmcnt(0)
	v_mul_f32_e32 v11, v29, v31
	v_mul_f32_e32 v12, v29, v30
	v_fmac_f32_e32 v11, v28, v30
	v_fma_f32 v12, v28, v31, -v12
.LBB12_38:                              ;   in Loop: Header=BB12_24 Depth=3
	s_andn2_saveexec_b64 s[28:29], s[28:29]
	s_cbranch_execz .LBB12_23
; %bb.39:                               ;   in Loop: Header=BB12_24 Depth=3
	v_mov_b32_e32 v11, s42
	ds_read_b64 v[11:12], v11 offset:24
	s_branch .LBB12_23
.LBB12_40:                              ;   in Loop: Header=BB12_5 Depth=1
	s_or_b64 exec, exec, s[22:23]
.LBB12_41:                              ;   in Loop: Header=BB12_5 Depth=1
	s_and_saveexec_b64 s[22:23], s[0:1]
	s_cbranch_execz .LBB12_4
; %bb.42:                               ;   in Loop: Header=BB12_5 Depth=1
	v_mad_u64_u32 v[1:2], s[0:1], s10, v20, 0
	v_mov_b32_e32 v5, s58
	v_mad_u64_u32 v[2:3], s[0:1], s11, v20, v[2:3]
	ds_read_b64 v[3:4], v13
	v_lshlrev_b64 v[1:2], 3, v[1:2]
	v_add_co_u32_e32 v1, vcc, s33, v1
	v_addc_co_u32_e32 v2, vcc, v5, v2, vcc
	s_waitcnt lgkmcnt(0)
	flat_store_dwordx2 v[1:2], v[3:4]
	s_branch .LBB12_4
.LBB12_43:
	s_mov_b64 s[0:1], 0
.LBB12_44:
	s_andn2_b64 vcc, exec, s[0:1]
	s_cbranch_vccnz .LBB12_91
; %bb.45:
	s_andn2_b64 vcc, exec, s[8:9]
	s_cbranch_vccnz .LBB12_91
; %bb.46:
	v_mov_b32_e32 v1, 0x1000
	v_mov_b32_e32 v2, 0
	v_lshl_or_b32 v19, v0, 3, v1
	v_mov_b32_e32 v1, v2
	v_mad_u64_u32 v[3:4], s[0:1], v0, v0, v[0:1]
	v_lshlrev_b32_e32 v1, 10, v0
	v_add_co_u32_e32 v7, vcc, 0x40200, v1
	v_or_b32_e32 v1, 0x200, v0
	v_mov_b32_e32 v6, v2
	v_addc_co_u32_e64 v8, s[0:1], 0, 0, vcc
	s_mov_b32 s14, 0
	v_add_u32_e32 v20, 0x201, v0
	v_mov_b32_e32 v21, s7
	s_xor_b64 s[22:23], s[12:13], -1
	v_mov_b32_e32 v5, v1
	s_mov_b64 s[24:25], s[6:7]
	s_branch .LBB12_48
.LBB12_47:                              ;   in Loop: Header=BB12_48 Depth=1
	s_or_b64 exec, exec, s[4:5]
	v_add_co_u32_e32 v9, vcc, 0x80000, v7
	v_addc_co_u32_e32 v10, vcc, 0, v8, vcc
	v_add_co_u32_e32 v3, vcc, v3, v7
	v_addc_co_u32_e32 v4, vcc, v4, v8, vcc
	v_add_co_u32_e32 v5, vcc, 0x200, v5
	s_add_u32 s24, s24, 0x1000
	v_addc_co_u32_e32 v6, vcc, 0, v6, vcc
	v_mov_b32_e32 v7, v9
	s_addc_u32 s25, s25, 0
	v_add_u32_e32 v20, 0x200, v20
	s_and_b64 vcc, exec, s[2:3]
	v_mov_b32_e32 v8, v10
	s_mov_b32 s14, s34
	s_waitcnt vmcnt(0) lgkmcnt(0)
	s_barrier
	s_cbranch_vccnz .LBB12_91
.LBB12_48:                              ; =>This Loop Header: Depth=1
                                        ;     Child Loop BB12_52 Depth 2
                                        ;     Child Loop BB12_65 Depth 2
                                        ;       Child Loop BB12_68 Depth 3
	v_add_u32_e32 v22, s14, v0
	v_cmp_le_i32_e32 vcc, s15, v22
	v_cmp_gt_i32_e64 s[0:1], s15, v22
	s_and_saveexec_b64 s[4:5], s[0:1]
	s_cbranch_execz .LBB12_50
; %bb.49:                               ;   in Loop: Header=BB12_48 Depth=1
	v_mad_u64_u32 v[9:10], s[2:3], s10, v22, 0
	v_mov_b32_e32 v1, v10
	v_mad_u64_u32 v[10:11], s[2:3], s11, v22, v[1:2]
	v_mov_b32_e32 v1, s58
	v_lshlrev_b64 v[9:10], 3, v[9:10]
	v_add_co_u32_e64 v9, s[2:3], s33, v9
	v_addc_co_u32_e64 v10, s[2:3], v1, v10, s[2:3]
	flat_load_dwordx2 v[9:10], v[9:10]
	s_waitcnt vmcnt(0) lgkmcnt(0)
	ds_write_b64 v19, v[9:10]
.LBB12_50:                              ;   in Loop: Header=BB12_48 Depth=1
	s_or_b64 exec, exec, s[4:5]
	v_lshlrev_b64 v[9:10], 2, v[3:4]
	v_mov_b32_e32 v1, s25
	v_and_b32_e32 v9, -8, v9
	v_add_co_u32_e64 v9, s[2:3], s24, v9
	v_addc_co_u32_e64 v10, s[2:3], v1, v10, s[2:3]
	v_or_b32_e32 v1, s14, v0
	v_add_u32_e32 v11, 1, v1
	v_mad_u64_u32 v[11:12], s[2:3], v11, v1, 0
	v_cmp_le_i32_e64 s[2:3], s15, v1
	s_mov_b32 s30, 0
	v_lshlrev_b64 v[11:12], 2, v[11:12]
	s_movk_i32 s31, 0x1000
	v_and_b32_e32 v11, -8, v11
	v_add_co_u32_e64 v13, s[4:5], s6, v11
	v_addc_co_u32_e64 v14, s[4:5], v21, v12, s[4:5]
	v_lshlrev_b64 v[11:12], 3, v[1:2]
	s_waitcnt lgkmcnt(0)
	v_add_co_u32_e64 v11, s[4:5], v13, v11
	v_addc_co_u32_e64 v12, s[4:5], v14, v12, s[4:5]
	s_xor_b64 s[4:5], vcc, -1
	s_barrier
	s_branch .LBB12_52
.LBB12_51:                              ;   in Loop: Header=BB12_52 Depth=2
	s_or_b64 exec, exec, s[26:27]
	s_add_i32 s30, s30, 1
	s_add_i32 s31, s31, 8
	v_add_co_u32_e32 v9, vcc, 8, v9
	s_cmpk_eq_i32 s30, 0x200
	v_addc_co_u32_e32 v10, vcc, 0, v10, vcc
	s_cbranch_scc1 .LBB12_61
.LBB12_52:                              ;   Parent Loop BB12_48 Depth=1
                                        ; =>  This Inner Loop Header: Depth=2
	v_cmp_ne_u32_e32 vcc, s30, v0
	s_or_b64 s[26:27], s[12:13], vcc
	s_nor_b64 s[28:29], s[26:27], s[2:3]
	s_and_saveexec_b64 s[26:27], s[28:29]
	s_cbranch_execz .LBB12_58
; %bb.53:                               ;   in Loop: Header=BB12_52 Depth=2
	flat_load_dwordx2 v[15:16], v[11:12]
	ds_read_b64 v[13:14], v19
                                        ; implicit-def: $vgpr17
	s_waitcnt vmcnt(0) lgkmcnt(0)
	v_cmp_ngt_f32_e64 s[28:29], |v15|, |v16|
	s_and_saveexec_b64 s[34:35], s[28:29]
	s_xor_b64 s[28:29], exec, s[34:35]
	s_cbranch_execz .LBB12_55
; %bb.54:                               ;   in Loop: Header=BB12_52 Depth=2
	v_div_scale_f32 v1, s[34:35], -v16, -v16, v15
	v_div_scale_f32 v17, vcc, v15, -v16, v15
	v_rcp_f32_e32 v18, v1
	v_fma_f32 v23, -v1, v18, 1.0
	v_fmac_f32_e32 v18, v23, v18
	v_mul_f32_e32 v23, v17, v18
	v_fma_f32 v24, -v1, v23, v17
	v_fmac_f32_e32 v23, v24, v18
	v_fma_f32 v1, -v1, v23, v17
	v_div_fmas_f32 v1, v1, v18, v23
	v_div_fixup_f32 v1, v1, -v16, v15
	v_fma_f32 v15, v15, v1, -v16
	v_div_scale_f32 v16, s[34:35], v15, v15, 1.0
	v_div_scale_f32 v17, vcc, 1.0, v15, 1.0
	v_rcp_f32_e32 v18, v16
	v_fma_f32 v23, -v16, v18, 1.0
	v_fmac_f32_e32 v18, v23, v18
	v_mul_f32_e32 v23, v17, v18
	v_fma_f32 v24, -v16, v23, v17
	v_fmac_f32_e32 v23, v24, v18
	v_fma_f32 v16, -v16, v23, v17
	v_div_fmas_f32 v16, v16, v18, v23
	v_fma_f32 v17, v1, v13, v14
	v_fma_f32 v1, v1, v14, -v13
	v_div_fixup_f32 v13, v16, v15, 1.0
	v_mul_f32_e32 v17, v13, v17
	v_mul_f32_e32 v18, v13, v1
                                        ; implicit-def: $vgpr15_vgpr16
                                        ; implicit-def: $vgpr13_vgpr14
.LBB12_55:                              ;   in Loop: Header=BB12_52 Depth=2
	s_andn2_saveexec_b64 s[28:29], s[28:29]
	s_cbranch_execz .LBB12_57
; %bb.56:                               ;   in Loop: Header=BB12_52 Depth=2
	v_div_scale_f32 v1, s[34:35], v15, v15, -v16
	v_div_scale_f32 v17, vcc, -v16, v15, -v16
	v_rcp_f32_e32 v18, v1
	v_fma_f32 v23, -v1, v18, 1.0
	v_fmac_f32_e32 v18, v23, v18
	v_mul_f32_e32 v23, v17, v18
	v_fma_f32 v24, -v1, v23, v17
	v_fmac_f32_e32 v23, v24, v18
	v_fma_f32 v1, -v1, v23, v17
	v_div_fmas_f32 v1, v1, v18, v23
	v_div_fixup_f32 v1, v1, v15, -v16
	v_fma_f32 v15, -v16, v1, v15
	v_div_scale_f32 v16, s[34:35], v15, v15, 1.0
	v_div_scale_f32 v17, vcc, 1.0, v15, 1.0
	v_rcp_f32_e32 v18, v16
	v_fma_f32 v23, -v16, v18, 1.0
	v_fmac_f32_e32 v18, v23, v18
	v_mul_f32_e32 v23, v17, v18
	v_fma_f32 v24, -v16, v23, v17
	v_fmac_f32_e32 v23, v24, v18
	v_fma_f32 v16, -v16, v23, v17
	v_div_fmas_f32 v16, v16, v18, v23
	v_fma_f32 v17, v1, v14, v13
	v_fma_f32 v1, -v1, v13, v14
	v_div_fixup_f32 v13, v16, v15, 1.0
	v_mul_f32_e32 v17, v13, v17
	v_mul_f32_e32 v18, v13, v1
.LBB12_57:                              ;   in Loop: Header=BB12_52 Depth=2
	s_or_b64 exec, exec, s[28:29]
	ds_write_b64 v19, v[17:18]
.LBB12_58:                              ;   in Loop: Header=BB12_52 Depth=2
	s_or_b64 exec, exec, s[26:27]
	v_cmp_lt_u32_e32 vcc, s30, v0
	s_waitcnt lgkmcnt(0)
	s_barrier
	s_and_saveexec_b64 s[26:27], vcc
	s_cbranch_execz .LBB12_51
; %bb.59:                               ;   in Loop: Header=BB12_52 Depth=2
	s_add_i32 s28, s14, s30
	s_cmp_lt_i32 s28, s15
	s_cselect_b64 s[28:29], -1, 0
	s_and_b64 s[28:29], s[4:5], s[28:29]
	s_and_b64 exec, exec, s[28:29]
	s_cbranch_execz .LBB12_51
; %bb.60:                               ;   in Loop: Header=BB12_52 Depth=2
	flat_load_dwordx2 v[13:14], v[9:10]
	v_mov_b32_e32 v1, s31
	ds_read_b64 v[15:16], v1
	ds_read_b64 v[17:18], v19
	s_waitcnt vmcnt(0) lgkmcnt(0)
	v_mul_f32_e32 v1, v14, v16
	v_mul_f32_e32 v14, v14, v15
	v_fmac_f32_e32 v1, v13, v15
	v_fma_f32 v14, v13, v16, -v14
	v_sub_f32_e32 v13, v17, v1
	v_sub_f32_e32 v14, v18, v14
	ds_write_b64 v19, v[13:14]
	s_branch .LBB12_51
.LBB12_61:                              ;   in Loop: Header=BB12_48 Depth=1
	s_add_i32 s34, s14, 0x200
	s_cmp_ge_i32 s34, s15
	s_cselect_b64 s[2:3], -1, 0
	s_and_b64 vcc, exec, s[2:3]
	s_waitcnt lgkmcnt(0)
	s_barrier
	s_cbranch_vccnz .LBB12_89
; %bb.62:                               ;   in Loop: Header=BB12_48 Depth=1
	v_mov_b32_e32 v10, v6
	s_mov_b64 s[4:5], 0
	v_mov_b32_e32 v1, v20
	v_mov_b32_e32 v9, v5
	;; [unrolled: 1-line block ×3, first 2 shown]
	s_mov_b32 s35, s34
                                        ; implicit-def: $sgpr26_sgpr27
	s_branch .LBB12_65
.LBB12_63:                              ;   in Loop: Header=BB12_65 Depth=2
	v_mad_u64_u32 v[11:12], s[30:31], s10, v14, 0
	s_addk_i32 s35, 0x200
	s_cmp_ge_i32 s35, s15
	v_mad_u64_u32 v[17:18], s[30:31], s11, v14, v[12:13]
	v_mov_b32_e32 v14, s58
	s_cselect_b64 s[30:31], -1, 0
	v_mov_b32_e32 v12, v17
	v_lshlrev_b64 v[11:12], 3, v[11:12]
	s_andn2_b64 s[26:27], s[26:27], exec
	v_add_co_u32_e32 v11, vcc, s33, v11
	v_addc_co_u32_e32 v12, vcc, v14, v12, vcc
	flat_load_dwordx2 v[17:18], v[11:12]
	v_add_co_u32_e32 v9, vcc, 0x200, v9
	s_and_b64 s[30:31], s[30:31], exec
	v_add_u32_e32 v1, 0x200, v1
	v_addc_co_u32_e32 v10, vcc, 0, v10, vcc
	s_or_b64 s[26:27], s[26:27], s[30:31]
	s_waitcnt vmcnt(0) lgkmcnt(0)
	v_sub_f32_e32 v14, v17, v16
	v_sub_f32_e32 v15, v18, v15
	flat_store_dwordx2 v[11:12], v[14:15]
.LBB12_64:                              ;   in Loop: Header=BB12_65 Depth=2
	s_or_b64 exec, exec, s[28:29]
	s_and_b64 s[28:29], exec, s[26:27]
	s_or_b64 s[4:5], s[28:29], s[4:5]
	s_andn2_b64 exec, exec, s[4:5]
	s_cbranch_execz .LBB12_88
.LBB12_65:                              ;   Parent Loop BB12_48 Depth=1
                                        ; =>  This Loop Header: Depth=2
                                        ;       Child Loop BB12_68 Depth 3
	v_add_u32_e32 v14, s35, v0
	v_cmp_gt_i32_e32 vcc, s15, v14
	s_or_b64 s[26:27], s[26:27], exec
	s_and_saveexec_b64 s[28:29], vcc
	s_cbranch_execz .LBB12_64
; %bb.66:                               ;   in Loop: Header=BB12_65 Depth=2
	v_mad_u64_u32 v[11:12], s[30:31], v9, v1, 0
	v_add_u32_e32 v17, 0x1fd, v13
	v_add_u32_e32 v18, 0x1fe, v13
	v_mad_u64_u32 v[15:16], s[30:31], v10, v1, v[12:13]
	v_mov_b32_e32 v16, s25
	v_add_u32_e32 v23, 0x1ff, v13
	v_mov_b32_e32 v12, v15
	v_lshlrev_b64 v[11:12], 2, v[11:12]
	v_add_u32_e32 v13, 0x200, v13
	v_and_b32_e32 v11, -8, v11
	v_add_co_u32_e32 v11, vcc, s24, v11
	v_addc_co_u32_e32 v12, vcc, v16, v12, vcc
	v_mov_b32_e32 v15, 0
	s_mov_b32 s36, 0
	s_movk_i32 s37, 0x1000
	v_mov_b32_e32 v16, 0
	s_branch .LBB12_68
.LBB12_67:                              ;   in Loop: Header=BB12_68 Depth=3
	s_or_b64 exec, exec, s[30:31]
	s_add_i32 s36, s36, 4
	s_add_i32 s37, s37, 32
	v_add_co_u32_e32 v11, vcc, 32, v11
	s_cmpk_eq_i32 s36, 0x200
	v_addc_co_u32_e32 v12, vcc, 0, v12, vcc
	s_cbranch_scc1 .LBB12_63
.LBB12_68:                              ;   Parent Loop BB12_48 Depth=1
                                        ;     Parent Loop BB12_65 Depth=2
                                        ; =>    This Inner Loop Header: Depth=3
	v_cmp_ne_u32_e32 vcc, s36, v13
	s_add_i32 s38, s14, s36
	s_or_b64 s[30:31], s[22:23], vcc
	s_and_saveexec_b64 s[40:41], s[30:31]
	s_xor_b64 s[30:31], exec, s[40:41]
	s_cbranch_execz .LBB12_71
; %bb.69:                               ;   in Loop: Header=BB12_68 Depth=3
	s_cmp_ge_i32 s38, s15
	s_cbranch_scc1 .LBB12_71
; %bb.70:                               ;   in Loop: Header=BB12_68 Depth=3
	flat_load_dwordx2 v[24:25], v[11:12]
	v_mov_b32_e32 v26, s37
	ds_read_b64 v[26:27], v26
	s_waitcnt vmcnt(0) lgkmcnt(0)
	v_mul_f32_e32 v28, v25, v27
	v_mul_f32_e32 v25, v25, v26
	v_fmac_f32_e32 v28, v24, v26
	v_fma_f32 v24, v24, v27, -v25
	v_add_f32_e32 v16, v16, v28
	v_add_f32_e32 v15, v15, v24
.LBB12_71:                              ;   in Loop: Header=BB12_68 Depth=3
	s_andn2_saveexec_b64 s[30:31], s[30:31]
	s_cbranch_execz .LBB12_73
; %bb.72:                               ;   in Loop: Header=BB12_68 Depth=3
	v_mov_b32_e32 v24, s37
	ds_read_b64 v[24:25], v24
	s_waitcnt lgkmcnt(0)
	v_add_f32_e32 v16, v16, v24
	v_add_f32_e32 v15, v15, v25
.LBB12_73:                              ;   in Loop: Header=BB12_68 Depth=3
	s_or_b64 exec, exec, s[30:31]
	v_cmp_ne_u32_e32 vcc, s36, v23
	s_or_b64 s[30:31], s[22:23], vcc
	s_and_saveexec_b64 s[40:41], s[30:31]
	s_xor_b64 s[30:31], exec, s[40:41]
	s_cbranch_execz .LBB12_76
; %bb.74:                               ;   in Loop: Header=BB12_68 Depth=3
	s_add_i32 s39, s38, 1
	s_cmp_ge_i32 s39, s15
	s_cbranch_scc1 .LBB12_76
; %bb.75:                               ;   in Loop: Header=BB12_68 Depth=3
	flat_load_dwordx2 v[24:25], v[11:12] offset:8
	v_mov_b32_e32 v26, s37
	ds_read_b64 v[26:27], v26 offset:8
	s_waitcnt vmcnt(0) lgkmcnt(0)
	v_mul_f32_e32 v28, v25, v27
	v_mul_f32_e32 v25, v25, v26
	v_fmac_f32_e32 v28, v24, v26
	v_fma_f32 v24, v24, v27, -v25
	v_add_f32_e32 v16, v16, v28
	v_add_f32_e32 v15, v15, v24
.LBB12_76:                              ;   in Loop: Header=BB12_68 Depth=3
	s_andn2_saveexec_b64 s[30:31], s[30:31]
	s_cbranch_execz .LBB12_78
; %bb.77:                               ;   in Loop: Header=BB12_68 Depth=3
	v_mov_b32_e32 v24, s37
	ds_read_b64 v[24:25], v24 offset:8
	s_waitcnt lgkmcnt(0)
	v_add_f32_e32 v16, v16, v24
	v_add_f32_e32 v15, v15, v25
.LBB12_78:                              ;   in Loop: Header=BB12_68 Depth=3
	s_or_b64 exec, exec, s[30:31]
	v_cmp_ne_u32_e32 vcc, s36, v18
	s_or_b64 s[30:31], s[22:23], vcc
	s_and_saveexec_b64 s[40:41], s[30:31]
	s_xor_b64 s[30:31], exec, s[40:41]
	s_cbranch_execz .LBB12_81
; %bb.79:                               ;   in Loop: Header=BB12_68 Depth=3
	s_add_i32 s39, s38, 2
	s_cmp_ge_i32 s39, s15
	s_cbranch_scc1 .LBB12_81
; %bb.80:                               ;   in Loop: Header=BB12_68 Depth=3
	flat_load_dwordx2 v[24:25], v[11:12] offset:16
	v_mov_b32_e32 v26, s37
	ds_read_b64 v[26:27], v26 offset:16
	s_waitcnt vmcnt(0) lgkmcnt(0)
	v_mul_f32_e32 v28, v25, v27
	v_mul_f32_e32 v25, v25, v26
	v_fmac_f32_e32 v28, v24, v26
	v_fma_f32 v24, v24, v27, -v25
	v_add_f32_e32 v16, v16, v28
	v_add_f32_e32 v15, v15, v24
.LBB12_81:                              ;   in Loop: Header=BB12_68 Depth=3
	s_andn2_saveexec_b64 s[30:31], s[30:31]
	s_cbranch_execz .LBB12_83
; %bb.82:                               ;   in Loop: Header=BB12_68 Depth=3
	v_mov_b32_e32 v24, s37
	ds_read_b64 v[24:25], v24 offset:16
	s_waitcnt lgkmcnt(0)
	v_add_f32_e32 v16, v16, v24
	v_add_f32_e32 v15, v15, v25
.LBB12_83:                              ;   in Loop: Header=BB12_68 Depth=3
	s_or_b64 exec, exec, s[30:31]
	v_cmp_ne_u32_e32 vcc, s36, v17
	s_or_b64 s[30:31], s[22:23], vcc
	s_and_saveexec_b64 s[40:41], s[30:31]
	s_xor_b64 s[30:31], exec, s[40:41]
	s_cbranch_execz .LBB12_86
; %bb.84:                               ;   in Loop: Header=BB12_68 Depth=3
	s_add_i32 s38, s38, 3
	s_cmp_ge_i32 s38, s15
	s_cbranch_scc1 .LBB12_86
; %bb.85:                               ;   in Loop: Header=BB12_68 Depth=3
	flat_load_dwordx2 v[24:25], v[11:12] offset:24
	v_mov_b32_e32 v26, s37
	ds_read_b64 v[26:27], v26 offset:24
	s_waitcnt vmcnt(0) lgkmcnt(0)
	v_mul_f32_e32 v28, v25, v27
	v_mul_f32_e32 v25, v25, v26
	v_fmac_f32_e32 v28, v24, v26
	v_fma_f32 v24, v24, v27, -v25
	v_add_f32_e32 v16, v16, v28
	v_add_f32_e32 v15, v15, v24
.LBB12_86:                              ;   in Loop: Header=BB12_68 Depth=3
	s_andn2_saveexec_b64 s[30:31], s[30:31]
	s_cbranch_execz .LBB12_67
; %bb.87:                               ;   in Loop: Header=BB12_68 Depth=3
	v_mov_b32_e32 v24, s37
	ds_read_b64 v[24:25], v24 offset:24
	s_waitcnt lgkmcnt(0)
	v_add_f32_e32 v16, v16, v24
	v_add_f32_e32 v15, v15, v25
	s_branch .LBB12_67
.LBB12_88:                              ;   in Loop: Header=BB12_48 Depth=1
	s_or_b64 exec, exec, s[4:5]
.LBB12_89:                              ;   in Loop: Header=BB12_48 Depth=1
	s_and_saveexec_b64 s[4:5], s[0:1]
	s_cbranch_execz .LBB12_47
; %bb.90:                               ;   in Loop: Header=BB12_48 Depth=1
	v_mad_u64_u32 v[9:10], s[0:1], s10, v22, 0
	v_mov_b32_e32 v1, v10
	v_mad_u64_u32 v[10:11], s[0:1], s11, v22, v[1:2]
	ds_read_b64 v[11:12], v19
	v_mov_b32_e32 v1, s58
	v_lshlrev_b64 v[9:10], 3, v[9:10]
	v_add_co_u32_e32 v9, vcc, s33, v9
	v_addc_co_u32_e32 v10, vcc, v1, v10, vcc
	s_waitcnt lgkmcnt(0)
	flat_store_dwordx2 v[9:10], v[11:12]
	s_branch .LBB12_47
.LBB12_91:
	s_mov_b64 s[0:1], 0
.LBB12_92:
	s_andn2_b64 vcc, exec, s[0:1]
	s_cbranch_vccnz .LBB12_166
; %bb.93:
	s_mov_b64 s[0:1], -1
	s_and_b64 vcc, exec, s[20:21]
	s_cbranch_vccz .LBB12_132
; %bb.94:
	s_andn2_b64 vcc, exec, s[8:9]
	s_cbranch_vccnz .LBB12_131
; %bb.95:
	s_lshl_b32 s20, s15, 1
	s_or_b32 s14, s20, 1
	s_ashr_i32 s21, s20, 31
	s_add_u32 s59, s16, s18
	s_addc_u32 s0, s17, s19
	v_mov_b32_e32 v15, s0
	s_lshl_b64 s[0:1], s[20:21], 9
	s_add_u32 s34, s0, 0xfffc0200
	s_addc_u32 s35, s1, -1
	s_add_u32 s28, s0, 0xfffbfe00
	s_addc_u32 s29, s1, -1
	s_lshl_b64 s[0:1], s[20:21], 1
	s_add_u32 s16, s0, -6
	v_lshlrev_b32_e32 v14, 3, v0
	s_addc_u32 s17, s1, -1
	v_add_co_u32_e32 v2, vcc, s59, v14
	s_add_u32 s18, s0, -2
	v_mov_b32_e32 v1, 0
	v_addc_co_u32_e32 v3, vcc, 0, v15, vcc
	v_or_b32_e32 v16, 0x200, v0
	s_addc_u32 s19, s1, -1
	s_mov_b64 s[22:23], -1
	s_mov_b64 s[24:25], 0
	v_mov_b32_e32 v17, s7
	s_mov_b64 s[26:27], 0
	s_mov_b64 s[30:31], s[20:21]
	;; [unrolled: 1-line block ×3, first 2 shown]
	s_branch .LBB12_97
.LBB12_96:                              ;   in Loop: Header=BB12_97 Depth=1
	s_or_b64 exec, exec, s[36:37]
	s_add_u32 s0, s34, 0xfff80000
	s_addc_u32 s1, s35, -1
	s_add_u32 s24, s24, s34
	s_addc_u32 s25, s25, s35
	s_add_u32 s30, s30, 0xfffffc00
	s_addc_u32 s31, s31, -1
	s_add_u32 s22, s22, 0xfffffe00
	s_addc_u32 s23, s23, -1
	;; [unrolled: 2-line block ×3, first 2 shown]
	s_add_u32 s20, s20, s28
	s_addc_u32 s21, s21, s29
	s_add_u32 s16, s16, 0xfffff800
	s_addc_u32 s17, s17, -1
	s_add_u32 s26, s26, 0xfffffe00
	s_addc_u32 s27, s27, -1
	s_add_u32 s18, s18, 0xfffff800
	v_add_u32_e32 v16, 0x200, v16
	s_addc_u32 s19, s19, -1
	s_and_b64 vcc, exec, s[4:5]
	s_mov_b64 s[28:29], s[34:35]
	s_mov_b64 s[34:35], s[0:1]
	;; [unrolled: 1-line block ×3, first 2 shown]
	s_waitcnt vmcnt(0) lgkmcnt(0)
	s_barrier
	s_cbranch_vccnz .LBB12_131
.LBB12_97:                              ; =>This Loop Header: Depth=1
                                        ;     Child Loop BB12_101 Depth 2
                                        ;     Child Loop BB12_114 Depth 2
                                        ;       Child Loop BB12_116 Depth 3
	v_add_u32_e32 v18, s36, v0
	v_cmp_le_i32_e32 vcc, s15, v18
	v_cmp_gt_i32_e64 s[0:1], s15, v18
	s_and_saveexec_b64 s[4:5], s[0:1]
	s_cbranch_execz .LBB12_99
; %bb.98:                               ;   in Loop: Header=BB12_97 Depth=1
	v_mad_u64_u32 v[4:5], s[2:3], s10, v18, 0
	v_mad_u64_u32 v[5:6], s[2:3], s11, v18, v[5:6]
	v_mov_b32_e32 v6, s58
	v_lshlrev_b64 v[4:5], 3, v[4:5]
	v_add_co_u32_e64 v4, s[2:3], s33, v4
	v_addc_co_u32_e64 v5, s[2:3], v6, v5, s[2:3]
	flat_load_dwordx2 v[4:5], v[4:5]
	s_waitcnt vmcnt(0) lgkmcnt(0)
	ds_write_b64 v14, v[4:5]
.LBB12_99:                              ;   in Loop: Header=BB12_97 Depth=1
	s_or_b64 exec, exec, s[4:5]
	v_or_b32_e32 v7, s36, v0
	v_sub_u32_e32 v6, s14, v7
	v_mad_u64_u32 v[4:5], s[2:3], v6, v7, 0
	v_ashrrev_i32_e32 v6, 31, v6
	s_mov_b32 s48, 0
	v_mad_u64_u32 v[5:6], s[2:3], v6, v7, v[5:6]
	v_cmp_le_i32_e64 s[2:3], s15, v7
	v_mov_b32_e32 v7, v3
	v_lshlrev_b64 v[4:5], 2, v[4:5]
	s_xor_b64 s[38:39], vcc, -1
	v_and_b32_e32 v4, -8, v4
	v_add_co_u32_e64 v4, s[4:5], s6, v4
	v_addc_co_u32_e64 v5, s[4:5], v17, v5, s[4:5]
	s_mov_b64 s[4:5], 0
	s_mov_b64 s[40:41], s[24:25]
	;; [unrolled: 1-line block ×3, first 2 shown]
	v_mov_b32_e32 v6, v2
	s_waitcnt lgkmcnt(0)
	s_barrier
	s_branch .LBB12_101
.LBB12_100:                             ;   in Loop: Header=BB12_101 Depth=2
	s_or_b64 exec, exec, s[44:45]
	s_add_u32 s4, s4, 1
	s_addc_u32 s5, s5, 0
	s_add_u32 s44, s42, -2
	s_addc_u32 s45, s43, -1
	s_add_u32 s40, s40, s42
	v_add_co_u32_e32 v6, vcc, -8, v6
	s_addc_u32 s41, s41, s43
	s_add_i32 s48, s48, 8
	v_addc_co_u32_e32 v7, vcc, -1, v7, vcc
	s_cmpk_eq_i32 s4, 0x200
	s_mov_b64 s[42:43], s[44:45]
	s_cbranch_scc1 .LBB12_110
.LBB12_101:                             ;   Parent Loop BB12_97 Depth=1
                                        ; =>  This Inner Loop Header: Depth=2
	v_cmp_ne_u32_e32 vcc, s4, v0
	s_or_b64 s[44:45], s[12:13], vcc
	s_nor_b64 s[46:47], s[44:45], s[2:3]
	s_and_saveexec_b64 s[44:45], s[46:47]
	s_cbranch_execz .LBB12_107
; %bb.102:                              ;   in Loop: Header=BB12_101 Depth=2
	flat_load_dwordx2 v[8:9], v[4:5]
	ds_read_b64 v[10:11], v14
                                        ; implicit-def: $vgpr12
	s_waitcnt vmcnt(0) lgkmcnt(0)
	v_cmp_ngt_f32_e64 s[46:47], |v8|, |v9|
	s_and_saveexec_b64 s[50:51], s[46:47]
	s_xor_b64 s[46:47], exec, s[50:51]
	s_cbranch_execz .LBB12_104
; %bb.103:                              ;   in Loop: Header=BB12_101 Depth=2
	v_div_scale_f32 v12, s[50:51], v9, v9, v8
	v_div_scale_f32 v13, vcc, v8, v9, v8
	v_rcp_f32_e32 v19, v12
	v_fma_f32 v20, -v12, v19, 1.0
	v_fmac_f32_e32 v19, v20, v19
	v_mul_f32_e32 v20, v13, v19
	v_fma_f32 v21, -v12, v20, v13
	v_fmac_f32_e32 v20, v21, v19
	v_fma_f32 v12, -v12, v20, v13
	v_div_fmas_f32 v12, v12, v19, v20
	v_div_fixup_f32 v12, v12, v9, v8
	v_fmac_f32_e32 v9, v8, v12
	v_div_scale_f32 v8, s[50:51], v9, v9, 1.0
	v_div_scale_f32 v13, vcc, 1.0, v9, 1.0
	v_rcp_f32_e32 v19, v8
	v_fma_f32 v20, -v8, v19, 1.0
	v_fmac_f32_e32 v19, v20, v19
	v_mul_f32_e32 v20, v13, v19
	v_fma_f32 v21, -v8, v20, v13
	v_fmac_f32_e32 v20, v21, v19
	v_fma_f32 v8, -v8, v20, v13
	v_div_fmas_f32 v8, v8, v19, v20
	v_fma_f32 v13, v12, v10, v11
	v_fma_f32 v10, v12, v11, -v10
	v_div_fixup_f32 v8, v8, v9, 1.0
	v_mul_f32_e32 v12, v8, v13
	v_mul_f32_e32 v13, v8, v10
                                        ; implicit-def: $vgpr8_vgpr9
                                        ; implicit-def: $vgpr10_vgpr11
.LBB12_104:                             ;   in Loop: Header=BB12_101 Depth=2
	s_andn2_saveexec_b64 s[46:47], s[46:47]
	s_cbranch_execz .LBB12_106
; %bb.105:                              ;   in Loop: Header=BB12_101 Depth=2
	v_div_scale_f32 v12, s[50:51], v8, v8, v9
	v_div_scale_f32 v13, vcc, v9, v8, v9
	v_rcp_f32_e32 v19, v12
	v_fma_f32 v20, -v12, v19, 1.0
	v_fmac_f32_e32 v19, v20, v19
	v_mul_f32_e32 v20, v13, v19
	v_fma_f32 v21, -v12, v20, v13
	v_fmac_f32_e32 v20, v21, v19
	v_fma_f32 v12, -v12, v20, v13
	v_div_fmas_f32 v12, v12, v19, v20
	v_div_fixup_f32 v12, v12, v8, v9
	v_fmac_f32_e32 v8, v9, v12
	v_div_scale_f32 v9, s[50:51], v8, v8, 1.0
	v_div_scale_f32 v13, vcc, 1.0, v8, 1.0
	v_rcp_f32_e32 v19, v9
	v_fma_f32 v20, -v9, v19, 1.0
	v_fmac_f32_e32 v19, v20, v19
	v_mul_f32_e32 v20, v13, v19
	v_fma_f32 v21, -v9, v20, v13
	v_fmac_f32_e32 v20, v21, v19
	v_fma_f32 v9, -v9, v20, v13
	v_div_fmas_f32 v9, v9, v19, v20
	v_fma_f32 v13, v12, v11, v10
	v_fma_f32 v10, -v12, v10, v11
	v_div_fixup_f32 v8, v9, v8, 1.0
	v_mul_f32_e32 v12, v8, v13
	v_mul_f32_e32 v13, v8, v10
.LBB12_106:                             ;   in Loop: Header=BB12_101 Depth=2
	s_or_b64 exec, exec, s[46:47]
	ds_write_b64 v14, v[12:13]
.LBB12_107:                             ;   in Loop: Header=BB12_101 Depth=2
	s_or_b64 exec, exec, s[44:45]
	v_cmp_lt_u32_e32 vcc, s4, v0
	s_waitcnt lgkmcnt(0)
	s_barrier
	s_and_saveexec_b64 s[44:45], vcc
	s_cbranch_execz .LBB12_100
; %bb.108:                              ;   in Loop: Header=BB12_101 Depth=2
	s_add_i32 s46, s36, s4
	s_cmp_lt_i32 s46, s15
	s_cselect_b64 s[46:47], -1, 0
	s_and_b64 s[46:47], s[38:39], s[46:47]
	s_and_b64 exec, exec, s[46:47]
	s_cbranch_execz .LBB12_100
; %bb.109:                              ;   in Loop: Header=BB12_101 Depth=2
	s_lshl_b64 s[46:47], s[40:41], 2
	s_and_b32 s46, s46, -8
	v_mov_b32_e32 v9, s47
	v_add_co_u32_e32 v8, vcc, s46, v6
	v_addc_co_u32_e32 v9, vcc, v7, v9, vcc
	flat_load_dwordx2 v[8:9], v[8:9]
	v_mov_b32_e32 v10, s48
	ds_read_b64 v[10:11], v10
	ds_read_b64 v[12:13], v14
	s_waitcnt vmcnt(0) lgkmcnt(0)
	v_mul_f32_e32 v19, v11, v9
	v_mul_f32_e32 v9, v10, v9
	v_fma_f32 v10, v10, v8, -v19
	v_fmac_f32_e32 v9, v11, v8
	v_sub_f32_e32 v8, v12, v10
	v_sub_f32_e32 v9, v13, v9
	ds_write_b64 v14, v[8:9]
	s_branch .LBB12_100
.LBB12_110:                             ;   in Loop: Header=BB12_97 Depth=1
	s_add_u32 s2, s36, 0x200
	s_addc_u32 s3, s37, 0
	s_cmp_ge_i32 s2, s15
	s_cselect_b64 s[4:5], -1, 0
	s_and_b64 vcc, exec, s[4:5]
	s_waitcnt lgkmcnt(0)
	s_barrier
	s_cbranch_vccnz .LBB12_129
; %bb.111:                              ;   in Loop: Header=BB12_97 Depth=1
	v_ashrrev_i32_e32 v7, 31, v16
	v_mov_b32_e32 v5, s23
	v_add_co_u32_e32 v4, vcc, s22, v16
	v_addc_co_u32_e32 v5, vcc, v5, v7, vcc
	v_lshlrev_b64 v[4:5], 3, v[4:5]
	v_mov_b32_e32 v8, s27
	v_add_co_u32_e32 v4, vcc, s59, v4
	v_addc_co_u32_e32 v5, vcc, v15, v5, vcc
	v_add_co_u32_e32 v6, vcc, s26, v16
	v_addc_co_u32_e32 v7, vcc, v8, v7, vcc
	v_lshlrev_b64 v[6:7], 3, v[6:7]
	v_mov_b32_e32 v9, v1
	v_add_co_u32_e32 v6, vcc, s59, v6
	s_mov_b32 s37, s2
	v_addc_co_u32_e32 v7, vcc, v15, v7, vcc
	s_mov_b64 s[38:39], 0
	v_mov_b32_e32 v8, v0
                                        ; implicit-def: $sgpr40_sgpr41
	s_branch .LBB12_114
.LBB12_112:                             ;   in Loop: Header=BB12_114 Depth=2
	v_mad_u64_u32 v[10:11], s[44:45], s10, v21, 0
	s_addk_i32 s37, 0x200
	s_cmp_ge_i32 s37, s15
	v_mad_u64_u32 v[11:12], s[44:45], s11, v21, v[11:12]
	v_mov_b32_e32 v12, s58
	s_cselect_b64 s[44:45], -1, 0
	v_lshlrev_b64 v[10:11], 3, v[10:11]
	s_andn2_b64 s[40:41], s[40:41], exec
	v_add_co_u32_e32 v10, vcc, s33, v10
	v_addc_co_u32_e32 v11, vcc, v12, v11, vcc
	flat_load_dwordx2 v[12:13], v[10:11]
	v_add_co_u32_e32 v4, vcc, 0x1000, v4
	v_addc_co_u32_e32 v5, vcc, 0, v5, vcc
	v_add_co_u32_e32 v6, vcc, 0x1000, v6
	s_and_b64 s[44:45], s[44:45], exec
	v_addc_co_u32_e32 v7, vcc, 0, v7, vcc
	s_or_b64 s[40:41], s[40:41], s[44:45]
	s_waitcnt vmcnt(0) lgkmcnt(0)
	v_sub_f32_e32 v12, v12, v20
	v_sub_f32_e32 v13, v13, v19
	flat_store_dwordx2 v[10:11], v[12:13]
.LBB12_113:                             ;   in Loop: Header=BB12_114 Depth=2
	s_or_b64 exec, exec, s[42:43]
	s_and_b64 s[42:43], exec, s[40:41]
	s_or_b64 s[38:39], s[42:43], s[38:39]
	s_andn2_b64 exec, exec, s[38:39]
	s_cbranch_execz .LBB12_128
.LBB12_114:                             ;   Parent Loop BB12_97 Depth=1
                                        ; =>  This Loop Header: Depth=2
                                        ;       Child Loop BB12_116 Depth 3
	v_add_u32_e32 v21, s37, v0
	v_cmp_gt_i32_e32 vcc, s15, v21
	s_or_b64 s[40:41], s[40:41], exec
	s_and_saveexec_b64 s[42:43], vcc
	s_cbranch_execz .LBB12_113
; %bb.115:                              ;   in Loop: Header=BB12_114 Depth=2
	v_add_co_u32_e32 v22, vcc, 0x1ff, v8
	v_add_co_u32_e32 v8, vcc, 0x200, v8
	v_mov_b32_e32 v11, v7
	v_mov_b32_e32 v13, v5
	v_addc_co_u32_e32 v9, vcc, 0, v9, vcc
	v_mov_b32_e32 v19, 0
	s_mov_b64 s[44:45], 0
	s_mov_b32 s60, 0
	s_mov_b64 s[46:47], s[24:25]
	s_mov_b64 s[50:51], s[18:19]
	v_mov_b32_e32 v10, v6
	s_mov_b64 s[48:49], s[20:21]
	s_mov_b64 s[52:53], s[16:17]
	v_mov_b32_e32 v12, v4
	v_mov_b32_e32 v20, 0
.LBB12_116:                             ;   Parent Loop BB12_97 Depth=1
                                        ;     Parent Loop BB12_114 Depth=2
                                        ; =>    This Inner Loop Header: Depth=3
	v_cmp_ne_u32_e32 vcc, s44, v8
	s_xor_b64 s[54:55], s[12:13], -1
	s_add_u32 s61, s36, s44
	s_or_b64 s[56:57], s[54:55], vcc
	s_and_saveexec_b64 s[62:63], s[56:57]
	s_xor_b64 s[56:57], exec, s[62:63]
	s_cbranch_execz .LBB12_119
; %bb.117:                              ;   in Loop: Header=BB12_116 Depth=3
	s_cmp_ge_i32 s61, s15
	s_cbranch_scc1 .LBB12_119
; %bb.118:                              ;   in Loop: Header=BB12_116 Depth=3
	s_lshl_b64 s[62:63], s[46:47], 2
	s_and_b32 s62, s62, -8
	v_mov_b32_e32 v24, s63
	v_add_co_u32_e32 v23, vcc, s62, v10
	v_addc_co_u32_e32 v24, vcc, v11, v24, vcc
	flat_load_dwordx2 v[23:24], v[23:24]
	v_mov_b32_e32 v25, s60
	ds_read_b64 v[25:26], v25
	s_waitcnt vmcnt(0) lgkmcnt(0)
	v_mul_f32_e32 v27, v26, v24
	v_mul_f32_e32 v24, v25, v24
	v_fma_f32 v25, v25, v23, -v27
	v_fmac_f32_e32 v24, v26, v23
	v_add_f32_e32 v20, v20, v25
	v_add_f32_e32 v19, v19, v24
.LBB12_119:                             ;   in Loop: Header=BB12_116 Depth=3
	s_andn2_saveexec_b64 s[56:57], s[56:57]
	s_cbranch_execz .LBB12_121
; %bb.120:                              ;   in Loop: Header=BB12_116 Depth=3
	v_mov_b32_e32 v23, s60
	ds_read_b64 v[23:24], v23
	s_waitcnt lgkmcnt(0)
	v_add_f32_e32 v20, v20, v23
	v_add_f32_e32 v19, v19, v24
.LBB12_121:                             ;   in Loop: Header=BB12_116 Depth=3
	s_or_b64 exec, exec, s[56:57]
	v_cmp_ne_u32_e32 vcc, s44, v22
	s_or_b64 s[54:55], s[54:55], vcc
	s_and_saveexec_b64 s[56:57], s[54:55]
	s_xor_b64 s[54:55], exec, s[56:57]
	s_cbranch_execz .LBB12_124
; %bb.122:                              ;   in Loop: Header=BB12_116 Depth=3
	s_add_i32 s61, s61, 1
	s_cmp_ge_i32 s61, s15
	s_cbranch_scc1 .LBB12_124
; %bb.123:                              ;   in Loop: Header=BB12_116 Depth=3
	s_lshl_b64 s[56:57], s[48:49], 2
	s_and_b32 s56, s56, -8
	v_mov_b32_e32 v24, s57
	v_add_co_u32_e32 v23, vcc, s56, v12
	v_addc_co_u32_e32 v24, vcc, v13, v24, vcc
	flat_load_dwordx2 v[23:24], v[23:24]
	v_mov_b32_e32 v25, s60
	ds_read_b64 v[25:26], v25 offset:8
	s_waitcnt vmcnt(0) lgkmcnt(0)
	v_mul_f32_e32 v27, v26, v24
	v_mul_f32_e32 v24, v25, v24
	v_fma_f32 v25, v25, v23, -v27
	v_fmac_f32_e32 v24, v26, v23
	v_add_f32_e32 v20, v20, v25
	v_add_f32_e32 v19, v19, v24
.LBB12_124:                             ;   in Loop: Header=BB12_116 Depth=3
	s_andn2_saveexec_b64 s[54:55], s[54:55]
	s_cbranch_execz .LBB12_126
; %bb.125:                              ;   in Loop: Header=BB12_116 Depth=3
	v_mov_b32_e32 v23, s60
	ds_read_b64 v[23:24], v23 offset:8
	s_waitcnt lgkmcnt(0)
	v_add_f32_e32 v20, v20, v23
	v_add_f32_e32 v19, v19, v24
.LBB12_126:                             ;   in Loop: Header=BB12_116 Depth=3
	s_or_b64 exec, exec, s[54:55]
	s_add_u32 s44, s44, 2
	s_addc_u32 s45, s45, 0
	s_add_u32 s54, s52, -8
	s_addc_u32 s55, s53, -1
	s_add_u32 s48, s48, s52
	s_addc_u32 s49, s49, s53
	s_add_i32 s60, s60, 16
	s_add_u32 s52, s50, -8
	v_add_co_u32_e32 v12, vcc, -16, v12
	s_addc_u32 s53, s51, -1
	v_addc_co_u32_e32 v13, vcc, -1, v13, vcc
	s_add_u32 s46, s46, s50
	s_addc_u32 s47, s47, s51
	v_add_co_u32_e32 v10, vcc, -16, v10
	s_cmpk_eq_i32 s44, 0x200
	v_addc_co_u32_e32 v11, vcc, -1, v11, vcc
	s_cbranch_scc1 .LBB12_112
; %bb.127:                              ;   in Loop: Header=BB12_116 Depth=3
	s_mov_b64 s[50:51], s[52:53]
	s_mov_b64 s[52:53], s[54:55]
	s_branch .LBB12_116
.LBB12_128:                             ;   in Loop: Header=BB12_97 Depth=1
	s_or_b64 exec, exec, s[38:39]
.LBB12_129:                             ;   in Loop: Header=BB12_97 Depth=1
	s_and_saveexec_b64 s[36:37], s[0:1]
	s_cbranch_execz .LBB12_96
; %bb.130:                              ;   in Loop: Header=BB12_97 Depth=1
	v_mad_u64_u32 v[4:5], s[0:1], s10, v18, 0
	v_mov_b32_e32 v8, s58
	v_mad_u64_u32 v[5:6], s[0:1], s11, v18, v[5:6]
	ds_read_b64 v[6:7], v14
	v_lshlrev_b64 v[4:5], 3, v[4:5]
	v_add_co_u32_e32 v4, vcc, s33, v4
	v_addc_co_u32_e32 v5, vcc, v8, v5, vcc
	s_waitcnt lgkmcnt(0)
	flat_store_dwordx2 v[4:5], v[6:7]
	s_branch .LBB12_96
.LBB12_131:
	s_mov_b64 s[0:1], 0
.LBB12_132:
	s_andn2_b64 vcc, exec, s[0:1]
	s_cbranch_vccnz .LBB12_166
; %bb.133:
	s_andn2_b64 vcc, exec, s[8:9]
	s_cbranch_vccnz .LBB12_166
; %bb.134:
	v_mov_b32_e32 v1, 0x2000
	v_mov_b32_e32 v3, 0
	s_add_i32 s28, s15, 0xfffffe00
	v_lshl_or_b32 v13, v0, 3, v1
	s_mov_b32 s26, 0
	s_mov_b32 s27, s15
	v_mov_b32_e32 v1, v3
	v_mov_b32_e32 v14, s7
	s_xor_b64 s[4:5], s[12:13], -1
	s_branch .LBB12_136
.LBB12_135:                             ;   in Loop: Header=BB12_136 Depth=1
	s_or_b64 exec, exec, s[8:9]
	s_add_u32 s27, s27, 0xfffffe00
	s_addc_u32 s26, s26, -1
	s_and_b64 vcc, exec, s[2:3]
	s_mov_b32 s28, s7
	s_waitcnt vmcnt(0) lgkmcnt(0)
	s_barrier
	s_cbranch_vccnz .LBB12_166
.LBB12_136:                             ; =>This Loop Header: Depth=1
                                        ;     Child Loop BB12_140 Depth 2
                                        ;     Child Loop BB12_152 Depth 2
                                        ;       Child Loop BB12_155 Depth 3
	v_add_u32_e32 v4, s28, v0
	v_cmp_gt_i32_e32 vcc, 0, v4
	v_cmp_lt_i32_e64 s[0:1], -1, v4
	v_mov_b32_e32 v5, v3
	s_and_saveexec_b64 s[8:9], s[0:1]
	s_cbranch_execz .LBB12_138
; %bb.137:                              ;   in Loop: Header=BB12_136 Depth=1
	v_mad_u64_u32 v[6:7], s[2:3], s10, v4, 0
	v_mov_b32_e32 v2, v7
	v_mad_u64_u32 v[7:8], s[2:3], s11, v4, v[2:3]
	v_mov_b32_e32 v2, s58
	v_lshlrev_b64 v[6:7], 3, v[6:7]
	v_add_co_u32_e64 v6, s[2:3], s33, v6
	v_addc_co_u32_e64 v7, s[2:3], v2, v7, s[2:3]
	flat_load_dwordx2 v[6:7], v[6:7]
	s_waitcnt vmcnt(0) lgkmcnt(0)
	ds_write_b64 v13, v[6:7]
.LBB12_138:                             ;   in Loop: Header=BB12_136 Depth=1
	s_or_b64 exec, exec, s[8:9]
	v_add_u32_e32 v2, 1, v4
	v_mad_u64_u32 v[8:9], s[2:3], v4, v2, 0
	v_lshlrev_b64 v[10:11], 3, v[4:5]
	v_ashrrev_i32_e32 v7, 31, v4
	v_mov_b32_e32 v6, v4
	v_add_co_u32_e64 v10, s[2:3], s6, v10
	v_lshlrev_b64 v[5:6], 3, v[6:7]
	v_addc_co_u32_e64 v11, s[2:3], v14, v11, s[2:3]
	v_lshlrev_b64 v[7:8], 2, v[8:9]
	v_add_co_u32_e64 v2, s[2:3], s6, v5
	v_addc_co_u32_e64 v15, s[2:3], v14, v6, s[2:3]
	v_and_b32_e32 v5, -8, v7
	v_add_co_u32_e64 v5, s[2:3], v10, v5
	v_addc_co_u32_e64 v6, s[2:3], v11, v8, s[2:3]
	s_or_b64 s[2:3], s[12:13], vcc
	s_movk_i32 s7, 0x1ff
	s_movk_i32 s16, 0x2ff8
	s_xor_b64 s[8:9], s[2:3], -1
	s_waitcnt lgkmcnt(0)
	s_barrier
	s_branch .LBB12_140
.LBB12_139:                             ;   in Loop: Header=BB12_140 Depth=2
	s_or_b64 exec, exec, s[2:3]
	s_add_i32 s7, s7, -1
	s_add_i32 s16, s16, -8
	s_cmp_eq_u32 s7, -1
	s_cbranch_scc1 .LBB12_148
.LBB12_140:                             ;   Parent Loop BB12_136 Depth=1
                                        ; =>  This Inner Loop Header: Depth=2
	v_cmp_eq_u32_e32 vcc, s7, v0
	s_and_b64 s[14:15], vcc, s[8:9]
	s_and_saveexec_b64 s[2:3], s[14:15]
	s_cbranch_execz .LBB12_146
; %bb.141:                              ;   in Loop: Header=BB12_140 Depth=2
	flat_load_dwordx2 v[7:8], v[5:6]
	ds_read_b64 v[9:10], v13
                                        ; implicit-def: $vgpr11
	s_waitcnt vmcnt(0) lgkmcnt(0)
	v_cmp_ngt_f32_e64 s[14:15], |v7|, |v8|
	s_and_saveexec_b64 s[18:19], s[14:15]
	s_xor_b64 s[14:15], exec, s[18:19]
	s_cbranch_execz .LBB12_143
; %bb.142:                              ;   in Loop: Header=BB12_140 Depth=2
	v_div_scale_f32 v11, s[18:19], v8, v8, v7
	v_div_scale_f32 v12, vcc, v7, v8, v7
	v_rcp_f32_e32 v16, v11
	v_fma_f32 v17, -v11, v16, 1.0
	v_fmac_f32_e32 v16, v17, v16
	v_mul_f32_e32 v17, v12, v16
	v_fma_f32 v18, -v11, v17, v12
	v_fmac_f32_e32 v17, v18, v16
	v_fma_f32 v11, -v11, v17, v12
	v_div_fmas_f32 v11, v11, v16, v17
	v_div_fixup_f32 v11, v11, v8, v7
	v_fmac_f32_e32 v8, v7, v11
	v_div_scale_f32 v7, s[18:19], v8, v8, 1.0
	v_div_scale_f32 v12, vcc, 1.0, v8, 1.0
	v_rcp_f32_e32 v16, v7
	v_fma_f32 v17, -v7, v16, 1.0
	v_fmac_f32_e32 v16, v17, v16
	v_mul_f32_e32 v17, v12, v16
	v_fma_f32 v18, -v7, v17, v12
	v_fmac_f32_e32 v17, v18, v16
	v_fma_f32 v7, -v7, v17, v12
	v_div_fmas_f32 v7, v7, v16, v17
	v_fma_f32 v12, v11, v9, v10
	v_fma_f32 v9, v11, v10, -v9
	v_div_fixup_f32 v7, v7, v8, 1.0
	v_mul_f32_e32 v11, v7, v12
	v_mul_f32_e32 v12, v7, v9
                                        ; implicit-def: $vgpr7_vgpr8
                                        ; implicit-def: $vgpr9_vgpr10
.LBB12_143:                             ;   in Loop: Header=BB12_140 Depth=2
	s_andn2_saveexec_b64 s[14:15], s[14:15]
	s_cbranch_execz .LBB12_145
; %bb.144:                              ;   in Loop: Header=BB12_140 Depth=2
	v_div_scale_f32 v11, s[18:19], v7, v7, v8
	v_div_scale_f32 v12, vcc, v8, v7, v8
	v_rcp_f32_e32 v16, v11
	v_fma_f32 v17, -v11, v16, 1.0
	v_fmac_f32_e32 v16, v17, v16
	v_mul_f32_e32 v17, v12, v16
	v_fma_f32 v18, -v11, v17, v12
	v_fmac_f32_e32 v17, v18, v16
	v_fma_f32 v11, -v11, v17, v12
	v_div_fmas_f32 v11, v11, v16, v17
	v_div_fixup_f32 v11, v11, v7, v8
	v_fmac_f32_e32 v7, v8, v11
	v_div_scale_f32 v8, s[18:19], v7, v7, 1.0
	v_div_scale_f32 v12, vcc, 1.0, v7, 1.0
	v_rcp_f32_e32 v16, v8
	v_fma_f32 v17, -v8, v16, 1.0
	v_fmac_f32_e32 v16, v17, v16
	v_mul_f32_e32 v17, v12, v16
	v_fma_f32 v18, -v8, v17, v12
	v_fmac_f32_e32 v17, v18, v16
	v_fma_f32 v8, -v8, v17, v12
	v_div_fmas_f32 v8, v8, v16, v17
	v_fma_f32 v12, v11, v10, v9
	v_fma_f32 v9, -v11, v9, v10
	v_div_fixup_f32 v7, v8, v7, 1.0
	v_mul_f32_e32 v11, v7, v12
	v_mul_f32_e32 v12, v7, v9
.LBB12_145:                             ;   in Loop: Header=BB12_140 Depth=2
	s_or_b64 exec, exec, s[14:15]
	ds_write_b64 v13, v[11:12]
.LBB12_146:                             ;   in Loop: Header=BB12_140 Depth=2
	s_or_b64 exec, exec, s[2:3]
	s_add_i32 s15, s27, s7
	s_add_i32 s14, s15, 0xfffffe00
	v_or_b32_e32 v7, s14, v4
	v_cmp_gt_u32_e32 vcc, s7, v0
	v_cmp_lt_i32_e64 s[2:3], -1, v7
	s_and_b64 s[18:19], vcc, s[2:3]
	s_waitcnt lgkmcnt(0)
	s_barrier
	s_and_saveexec_b64 s[2:3], s[18:19]
	s_cbranch_execz .LBB12_139
; %bb.147:                              ;   in Loop: Header=BB12_140 Depth=2
	s_add_i32 s17, s15, 0xfffffe01
	s_mul_hi_u32 s15, s17, s14
	s_mul_i32 s14, s17, s14
	s_lshl_b64 s[14:15], s[14:15], 2
	s_and_b32 s14, s14, -8
	v_mov_b32_e32 v8, s15
	v_add_co_u32_e32 v7, vcc, s14, v2
	v_addc_co_u32_e32 v8, vcc, v15, v8, vcc
	flat_load_dwordx2 v[7:8], v[7:8]
	v_mov_b32_e32 v9, s16
	ds_read_b64 v[9:10], v9
	ds_read_b64 v[11:12], v13
	s_waitcnt vmcnt(0) lgkmcnt(0)
	v_mul_f32_e32 v16, v10, v8
	v_mul_f32_e32 v8, v9, v8
	v_fma_f32 v9, v9, v7, -v16
	v_fmac_f32_e32 v8, v10, v7
	v_sub_f32_e32 v7, v11, v9
	v_sub_f32_e32 v8, v12, v8
	ds_write_b64 v13, v[7:8]
	s_branch .LBB12_139
.LBB12_148:                             ;   in Loop: Header=BB12_136 Depth=1
	s_add_i32 s7, s28, 0xfffffe00
	s_cmp_lt_i32 s28, 1
	s_cselect_b64 s[2:3], -1, 0
	s_and_b64 vcc, exec, s[2:3]
	s_waitcnt lgkmcnt(0)
	s_barrier
	s_cbranch_vccnz .LBB12_164
; %bb.149:                              ;   in Loop: Header=BB12_136 Depth=1
	v_mov_b32_e32 v6, v1
	s_mov_b64 s[8:9], 0
	v_mov_b32_e32 v5, v0
	s_mov_b32 s29, s7
                                        ; implicit-def: $sgpr14_sgpr15
	s_branch .LBB12_152
.LBB12_150:                             ;   in Loop: Header=BB12_152 Depth=2
	v_mad_u64_u32 v[7:8], s[18:19], s10, v2, 0
	s_add_i32 s20, s29, 0xfffffe00
	s_cmp_lt_i32 s29, 1
	v_mad_u64_u32 v[8:9], s[18:19], s11, v2, v[8:9]
	v_mov_b32_e32 v2, s58
	s_cselect_b64 s[18:19], -1, 0
	v_lshlrev_b64 v[7:8], 3, v[7:8]
	s_andn2_b64 s[14:15], s[14:15], exec
	v_add_co_u32_e32 v7, vcc, s33, v7
	v_addc_co_u32_e32 v8, vcc, v2, v8, vcc
	flat_load_dwordx2 v[9:10], v[7:8]
	v_add_co_u32_e32 v5, vcc, 0xfffffe00, v5
	s_and_b64 s[18:19], s[18:19], exec
	v_addc_co_u32_e32 v6, vcc, -1, v6, vcc
	s_or_b64 s[14:15], s[14:15], s[18:19]
	s_mov_b32 s29, s20
	s_waitcnt vmcnt(0) lgkmcnt(0)
	v_sub_f32_e32 v9, v9, v16
	v_sub_f32_e32 v10, v10, v15
	flat_store_dwordx2 v[7:8], v[9:10]
.LBB12_151:                             ;   in Loop: Header=BB12_152 Depth=2
	s_or_b64 exec, exec, s[16:17]
	s_and_b64 s[16:17], exec, s[14:15]
	s_or_b64 s[8:9], s[16:17], s[8:9]
	s_andn2_b64 exec, exec, s[8:9]
	s_cbranch_execz .LBB12_163
.LBB12_152:                             ;   Parent Loop BB12_136 Depth=1
                                        ; =>  This Loop Header: Depth=2
                                        ;       Child Loop BB12_155 Depth 3
	v_add_u32_e32 v2, s29, v0
	v_cmp_lt_i32_e32 vcc, -1, v2
	s_or_b64 s[14:15], s[14:15], exec
	s_and_saveexec_b64 s[16:17], vcc
	s_cbranch_execz .LBB12_151
; %bb.153:                              ;   in Loop: Header=BB12_152 Depth=2
	v_lshlrev_b64 v[7:8], 3, v[2:3]
	v_mov_b32_e32 v15, 0
	v_add_co_u32_e32 v17, vcc, s6, v7
	v_addc_co_u32_e32 v18, vcc, v14, v8, vcc
	v_add_co_u32_e32 v19, vcc, 0xfffffdff, v5
	v_add_co_u32_e32 v20, vcc, 0xfffffe00, v5
	s_movk_i32 s30, 0x2000
	s_mov_b64 s[18:19], 0
	v_mov_b32_e32 v16, 0
	s_branch .LBB12_155
.LBB12_154:                             ;   in Loop: Header=BB12_155 Depth=3
	s_or_b64 exec, exec, s[20:21]
	s_add_i32 s30, s30, 16
	s_add_u32 s18, s18, 2
	s_waitcnt lgkmcnt(0)
	v_add_f32_e32 v8, v15, v8
	v_add_f32_e32 v7, v16, v7
	s_addc_u32 s19, s19, 0
	v_add_f32_e32 v15, v8, v10
	s_cmpk_eq_i32 s18, 0x200
	v_add_f32_e32 v16, v7, v9
	s_cbranch_scc1 .LBB12_150
.LBB12_155:                             ;   Parent Loop BB12_136 Depth=1
                                        ;     Parent Loop BB12_152 Depth=2
                                        ; =>    This Inner Loop Header: Depth=3
	v_cmp_ne_u32_e32 vcc, s18, v20
	s_or_b64 s[24:25], s[4:5], vcc
                                        ; implicit-def: $vgpr8
                                        ; implicit-def: $sgpr20_sgpr21
                                        ; implicit-def: $sgpr22_sgpr23
	s_and_saveexec_b64 s[34:35], s[24:25]
	s_xor_b64 s[24:25], exec, s[34:35]
	s_cbranch_execz .LBB12_157
; %bb.156:                              ;   in Loop: Header=BB12_155 Depth=3
	s_add_u32 s20, s27, s18
	s_addc_u32 s21, s26, s19
	s_add_u32 s22, s20, 0xfffffe01
	s_addc_u32 s23, s21, 0
	;; [unrolled: 2-line block ×3, first 2 shown]
	s_mul_i32 s34, s22, s34
	s_mul_hi_u32 s35, s22, s31
	s_add_i32 s35, s35, s34
	s_mul_i32 s34, s22, s31
	s_lshl_b64 s[34:35], s[34:35], 2
	s_and_b32 s31, s34, -8
	v_mov_b32_e32 v8, s35
	v_add_co_u32_e32 v7, vcc, s31, v17
	v_addc_co_u32_e32 v8, vcc, v18, v8, vcc
	flat_load_dwordx2 v[9:10], v[7:8]
	v_mov_b32_e32 v7, s30
	ds_read_b64 v[11:12], v7
	s_waitcnt vmcnt(0) lgkmcnt(0)
	v_mul_f32_e32 v7, v12, v10
	v_mul_f32_e32 v8, v11, v10
	v_fma_f32 v7, v11, v9, -v7
	v_fmac_f32_e32 v8, v12, v9
.LBB12_157:                             ;   in Loop: Header=BB12_155 Depth=3
	s_or_saveexec_b64 s[24:25], s[24:25]
	v_mov_b32_e32 v9, s22
	v_mov_b32_e32 v11, s20
	;; [unrolled: 1-line block ×4, first 2 shown]
	s_xor_b64 exec, exec, s[24:25]
	s_cbranch_execz .LBB12_159
; %bb.158:                              ;   in Loop: Header=BB12_155 Depth=3
	v_mov_b32_e32 v7, s30
	ds_read_b64 v[7:8], v7
	s_add_u32 s20, s27, s18
	s_addc_u32 s21, s26, s19
	s_add_u32 s22, s20, 0xfffffe01
	s_addc_u32 s23, s21, 0
	v_mov_b32_e32 v9, s22
	v_mov_b32_e32 v11, s20
	;; [unrolled: 1-line block ×4, first 2 shown]
.LBB12_159:                             ;   in Loop: Header=BB12_155 Depth=3
	s_or_b64 exec, exec, s[24:25]
	v_cmp_ne_u32_e32 vcc, s18, v19
	s_or_b64 s[20:21], s[4:5], vcc
                                        ; implicit-def: $vgpr10
	s_and_saveexec_b64 s[22:23], s[20:21]
	s_xor_b64 s[20:21], exec, s[22:23]
	s_cbranch_execz .LBB12_161
; %bb.160:                              ;   in Loop: Header=BB12_155 Depth=3
	v_add_u32_e32 v10, 0xfffffe02, v11
	v_mad_u64_u32 v[9:10], s[22:23], v10, v9, 0
	v_lshlrev_b64 v[9:10], 2, v[9:10]
	v_and_b32_e32 v9, -8, v9
	v_add_co_u32_e32 v9, vcc, v17, v9
	v_addc_co_u32_e32 v10, vcc, v18, v10, vcc
	flat_load_dwordx2 v[11:12], v[9:10]
	v_mov_b32_e32 v9, s30
	ds_read_b64 v[21:22], v9 offset:8
	s_waitcnt vmcnt(0) lgkmcnt(0)
	v_mul_f32_e32 v9, v22, v12
	v_mul_f32_e32 v10, v21, v12
	v_fma_f32 v9, v21, v11, -v9
	v_fmac_f32_e32 v10, v22, v11
.LBB12_161:                             ;   in Loop: Header=BB12_155 Depth=3
	s_andn2_saveexec_b64 s[20:21], s[20:21]
	s_cbranch_execz .LBB12_154
; %bb.162:                              ;   in Loop: Header=BB12_155 Depth=3
	v_mov_b32_e32 v9, s30
	ds_read_b64 v[9:10], v9 offset:8
	s_branch .LBB12_154
.LBB12_163:                             ;   in Loop: Header=BB12_136 Depth=1
	s_or_b64 exec, exec, s[8:9]
.LBB12_164:                             ;   in Loop: Header=BB12_136 Depth=1
	s_and_saveexec_b64 s[8:9], s[0:1]
	s_cbranch_execz .LBB12_135
; %bb.165:                              ;   in Loop: Header=BB12_136 Depth=1
	v_mad_u64_u32 v[5:6], s[0:1], s10, v4, 0
	v_mov_b32_e32 v2, v6
	v_mad_u64_u32 v[6:7], s[0:1], s11, v4, v[2:3]
	ds_read_b64 v[7:8], v13
	v_mov_b32_e32 v2, s58
	v_lshlrev_b64 v[4:5], 3, v[5:6]
	v_add_co_u32_e32 v4, vcc, s33, v4
	v_addc_co_u32_e32 v5, vcc, v2, v5, vcc
	s_waitcnt lgkmcnt(0)
	flat_store_dwordx2 v[4:5], v[7:8]
	s_branch .LBB12_135
.LBB12_166:
	s_endpgm
	.section	.rodata,"a",@progbits
	.p2align	6, 0x0
	.amdhsa_kernel _ZL19rocblas_tpsv_kernelILb1ELi512EPKPK19rocblas_complex_numIfEPKPS1_Ev18rocblas_operation_bbiT1_llT2_lll
		.amdhsa_group_segment_fixed_size 16384
		.amdhsa_private_segment_fixed_size 0
		.amdhsa_kernarg_size 72
		.amdhsa_user_sgpr_count 6
		.amdhsa_user_sgpr_private_segment_buffer 1
		.amdhsa_user_sgpr_dispatch_ptr 0
		.amdhsa_user_sgpr_queue_ptr 0
		.amdhsa_user_sgpr_kernarg_segment_ptr 1
		.amdhsa_user_sgpr_dispatch_id 0
		.amdhsa_user_sgpr_flat_scratch_init 0
		.amdhsa_user_sgpr_private_segment_size 0
		.amdhsa_uses_dynamic_stack 0
		.amdhsa_system_sgpr_private_segment_wavefront_offset 0
		.amdhsa_system_sgpr_workgroup_id_x 1
		.amdhsa_system_sgpr_workgroup_id_y 0
		.amdhsa_system_sgpr_workgroup_id_z 0
		.amdhsa_system_sgpr_workgroup_info 0
		.amdhsa_system_vgpr_workitem_id 0
		.amdhsa_next_free_vgpr 32
		.amdhsa_next_free_sgpr 64
		.amdhsa_reserve_vcc 1
		.amdhsa_reserve_flat_scratch 0
		.amdhsa_float_round_mode_32 0
		.amdhsa_float_round_mode_16_64 0
		.amdhsa_float_denorm_mode_32 3
		.amdhsa_float_denorm_mode_16_64 3
		.amdhsa_dx10_clamp 1
		.amdhsa_ieee_mode 1
		.amdhsa_fp16_overflow 0
		.amdhsa_exception_fp_ieee_invalid_op 0
		.amdhsa_exception_fp_denorm_src 0
		.amdhsa_exception_fp_ieee_div_zero 0
		.amdhsa_exception_fp_ieee_overflow 0
		.amdhsa_exception_fp_ieee_underflow 0
		.amdhsa_exception_fp_ieee_inexact 0
		.amdhsa_exception_int_div_zero 0
	.end_amdhsa_kernel
	.section	.text._ZL19rocblas_tpsv_kernelILb1ELi512EPKPK19rocblas_complex_numIfEPKPS1_Ev18rocblas_operation_bbiT1_llT2_lll,"axG",@progbits,_ZL19rocblas_tpsv_kernelILb1ELi512EPKPK19rocblas_complex_numIfEPKPS1_Ev18rocblas_operation_bbiT1_llT2_lll,comdat
.Lfunc_end12:
	.size	_ZL19rocblas_tpsv_kernelILb1ELi512EPKPK19rocblas_complex_numIfEPKPS1_Ev18rocblas_operation_bbiT1_llT2_lll, .Lfunc_end12-_ZL19rocblas_tpsv_kernelILb1ELi512EPKPK19rocblas_complex_numIfEPKPS1_Ev18rocblas_operation_bbiT1_llT2_lll
                                        ; -- End function
	.set _ZL19rocblas_tpsv_kernelILb1ELi512EPKPK19rocblas_complex_numIfEPKPS1_Ev18rocblas_operation_bbiT1_llT2_lll.num_vgpr, 32
	.set _ZL19rocblas_tpsv_kernelILb1ELi512EPKPK19rocblas_complex_numIfEPKPS1_Ev18rocblas_operation_bbiT1_llT2_lll.num_agpr, 0
	.set _ZL19rocblas_tpsv_kernelILb1ELi512EPKPK19rocblas_complex_numIfEPKPS1_Ev18rocblas_operation_bbiT1_llT2_lll.numbered_sgpr, 64
	.set _ZL19rocblas_tpsv_kernelILb1ELi512EPKPK19rocblas_complex_numIfEPKPS1_Ev18rocblas_operation_bbiT1_llT2_lll.num_named_barrier, 0
	.set _ZL19rocblas_tpsv_kernelILb1ELi512EPKPK19rocblas_complex_numIfEPKPS1_Ev18rocblas_operation_bbiT1_llT2_lll.private_seg_size, 0
	.set _ZL19rocblas_tpsv_kernelILb1ELi512EPKPK19rocblas_complex_numIfEPKPS1_Ev18rocblas_operation_bbiT1_llT2_lll.uses_vcc, 1
	.set _ZL19rocblas_tpsv_kernelILb1ELi512EPKPK19rocblas_complex_numIfEPKPS1_Ev18rocblas_operation_bbiT1_llT2_lll.uses_flat_scratch, 0
	.set _ZL19rocblas_tpsv_kernelILb1ELi512EPKPK19rocblas_complex_numIfEPKPS1_Ev18rocblas_operation_bbiT1_llT2_lll.has_dyn_sized_stack, 0
	.set _ZL19rocblas_tpsv_kernelILb1ELi512EPKPK19rocblas_complex_numIfEPKPS1_Ev18rocblas_operation_bbiT1_llT2_lll.has_recursion, 0
	.set _ZL19rocblas_tpsv_kernelILb1ELi512EPKPK19rocblas_complex_numIfEPKPS1_Ev18rocblas_operation_bbiT1_llT2_lll.has_indirect_call, 0
	.section	.AMDGPU.csdata,"",@progbits
; Kernel info:
; codeLenInByte = 7412
; TotalNumSgprs: 68
; NumVgprs: 32
; ScratchSize: 0
; MemoryBound: 0
; FloatMode: 240
; IeeeMode: 1
; LDSByteSize: 16384 bytes/workgroup (compile time only)
; SGPRBlocks: 8
; VGPRBlocks: 7
; NumSGPRsForWavesPerEU: 68
; NumVGPRsForWavesPerEU: 32
; Occupancy: 8
; WaveLimiterHint : 1
; COMPUTE_PGM_RSRC2:SCRATCH_EN: 0
; COMPUTE_PGM_RSRC2:USER_SGPR: 6
; COMPUTE_PGM_RSRC2:TRAP_HANDLER: 0
; COMPUTE_PGM_RSRC2:TGID_X_EN: 1
; COMPUTE_PGM_RSRC2:TGID_Y_EN: 0
; COMPUTE_PGM_RSRC2:TGID_Z_EN: 0
; COMPUTE_PGM_RSRC2:TIDIG_COMP_CNT: 0
	.section	.text._ZL19rocblas_tpsv_kernelILb0ELi512EPKPK19rocblas_complex_numIfEPKPS1_Ev18rocblas_operation_bbiT1_llT2_lll,"axG",@progbits,_ZL19rocblas_tpsv_kernelILb0ELi512EPKPK19rocblas_complex_numIfEPKPS1_Ev18rocblas_operation_bbiT1_llT2_lll,comdat
	.globl	_ZL19rocblas_tpsv_kernelILb0ELi512EPKPK19rocblas_complex_numIfEPKPS1_Ev18rocblas_operation_bbiT1_llT2_lll ; -- Begin function _ZL19rocblas_tpsv_kernelILb0ELi512EPKPK19rocblas_complex_numIfEPKPS1_Ev18rocblas_operation_bbiT1_llT2_lll
	.p2align	8
	.type	_ZL19rocblas_tpsv_kernelILb0ELi512EPKPK19rocblas_complex_numIfEPKPS1_Ev18rocblas_operation_bbiT1_llT2_lll,@function
_ZL19rocblas_tpsv_kernelILb0ELi512EPKPK19rocblas_complex_numIfEPKPS1_Ev18rocblas_operation_bbiT1_llT2_lll: ; @_ZL19rocblas_tpsv_kernelILb0ELi512EPKPK19rocblas_complex_numIfEPKPS1_Ev18rocblas_operation_bbiT1_llT2_lll
; %bb.0:
	s_load_dwordx2 s[22:23], s[4:5], 0x0
	s_load_dwordx2 s[14:15], s[4:5], 0x4
	s_load_dwordx4 s[0:3], s[4:5], 0x10
	s_load_dwordx2 s[24:25], s[4:5], 0x28
	s_mov_b32 s7, 0
	s_waitcnt lgkmcnt(0)
	s_bitcmp1_b32 s23, 0
	s_cselect_b64 s[8:9], -1, 0
	s_xor_b64 s[20:21], s[8:9], -1
	s_bitcmp1_b32 s14, 8
	s_cselect_b64 s[12:13], -1, 0
	s_lshl_b64 s[26:27], s[6:7], 3
	s_add_u32 s0, s0, s26
	s_addc_u32 s1, s1, s27
	s_load_dwordx2 s[16:17], s[0:1], 0x0
	s_load_dwordx4 s[8:11], s[4:5], 0x30
	s_lshl_b64 s[18:19], s[2:3], 3
	s_waitcnt lgkmcnt(0)
	s_add_u32 s6, s16, s18
	s_addc_u32 s7, s17, s19
	s_add_u32 s0, s24, s26
	s_addc_u32 s1, s25, s27
	s_load_dwordx2 s[0:1], s[0:1], 0x0
	s_lshl_b64 s[2:3], s[8:9], 3
	s_waitcnt lgkmcnt(0)
	s_add_u32 s33, s0, s2
	s_addc_u32 s58, s1, s3
	s_cmp_gt_i32 s15, 0
	s_cselect_b64 s[8:9], -1, 0
	s_cmpk_lg_i32 s22, 0x6f
	s_mov_b64 s[0:1], -1
	s_cbranch_scc0 .LBB13_92
; %bb.1:
	s_and_b64 vcc, exec, s[20:21]
	s_cbranch_vccz .LBB13_44
; %bb.2:
	s_andn2_b64 vcc, exec, s[8:9]
	s_cbranch_vccnz .LBB13_43
; %bb.3:
	s_lshl_b32 s2, s15, 1
	s_ashr_i32 s1, s15, 31
	s_mov_b32 s0, s15
	s_add_i32 s30, s15, 0xfffffe00
	s_or_b32 s14, s2, 1
	s_lshl_b64 s[0:1], s[0:1], 3
	s_add_u32 s0, s18, s0
	s_addc_u32 s1, s19, s1
	s_add_u32 s0, s16, s0
	v_mov_b32_e32 v1, 0x1000
	s_addc_u32 s1, s17, s1
	v_lshl_or_b32 v15, v0, 3, v1
	s_add_u32 s4, s0, 0xfffff000
	v_add_u32_e32 v1, s15, v0
	v_sub_u32_e32 v16, 0, v0
	s_addc_u32 s5, s1, -1
	v_add_u32_e32 v17, 0xfffffc00, v1
	s_ashr_i32 s34, s2, 31
	v_mov_b32_e32 v2, 0
	v_mov_b32_e32 v18, s7
	s_movk_i32 s35, 0x400
	s_xor_b64 s[22:23], s[12:13], -1
	s_movk_i32 s36, 0x401
	s_movk_i32 s37, 0x402
	;; [unrolled: 1-line block ×4, first 2 shown]
	s_branch .LBB13_5
.LBB13_4:                               ;   in Loop: Header=BB13_5 Depth=1
	s_or_b64 exec, exec, s[24:25]
	s_add_u32 s4, s4, 0xfffff000
	s_addc_u32 s5, s5, -1
	v_add_u32_e32 v17, 0xfffffe00, v17
	s_andn2_b64 vcc, exec, s[2:3]
	s_mov_b32 s30, s40
	s_waitcnt vmcnt(0) lgkmcnt(0)
	s_barrier
	s_cbranch_vccz .LBB13_43
.LBB13_5:                               ; =>This Loop Header: Depth=1
                                        ;     Child Loop BB13_9 Depth 2
                                        ;     Child Loop BB13_21 Depth 2
                                        ;       Child Loop BB13_24 Depth 3
	v_add_u32_e32 v19, s30, v0
	v_cmp_gt_i32_e64 s[2:3], 0, v19
	v_cmp_lt_i32_e64 s[0:1], -1, v19
	s_and_saveexec_b64 s[24:25], s[0:1]
	s_cbranch_execz .LBB13_7
; %bb.6:                                ;   in Loop: Header=BB13_5 Depth=1
	v_mad_u64_u32 v[3:4], s[26:27], s10, v19, 0
	v_mov_b32_e32 v1, v4
	v_mad_u64_u32 v[4:5], s[26:27], s11, v19, v[1:2]
	v_mov_b32_e32 v1, s58
	v_lshlrev_b64 v[3:4], 3, v[3:4]
	v_add_co_u32_e32 v3, vcc, s33, v3
	v_addc_co_u32_e32 v4, vcc, v1, v4, vcc
	flat_load_dwordx2 v[3:4], v[3:4]
	s_waitcnt vmcnt(0) lgkmcnt(0)
	ds_write_b64 v15, v[3:4]
.LBB13_7:                               ;   in Loop: Header=BB13_5 Depth=1
	s_or_b64 exec, exec, s[24:25]
	v_sub_u32_e32 v1, s14, v19
	v_mad_u64_u32 v[3:4], s[24:25], v19, v1, 0
	v_ashrrev_i32_e32 v5, 31, v1
	s_not_b32 s31, s30
	v_mov_b32_e32 v1, v4
	v_mad_u64_u32 v[4:5], s[24:25], v19, v5, v[1:2]
	s_or_b64 s[24:25], s[12:13], s[2:3]
	s_movk_i32 s40, 0x1ff
	v_lshlrev_b64 v[3:4], 2, v[3:4]
	s_movk_i32 s41, 0x1ff8
	v_and_b32_e32 v1, -8, v3
	v_add_co_u32_e32 v3, vcc, s6, v1
	v_addc_co_u32_e32 v4, vcc, v18, v4, vcc
	s_xor_b64 s[24:25], s[24:25], -1
	s_waitcnt lgkmcnt(0)
	s_barrier
	s_branch .LBB13_9
.LBB13_8:                               ;   in Loop: Header=BB13_9 Depth=2
	s_or_b64 exec, exec, s[26:27]
	s_add_i32 s40, s40, -1
	s_add_i32 s41, s41, -8
	s_cmp_eq_u32 s40, -1
	s_cbranch_scc1 .LBB13_17
.LBB13_9:                               ;   Parent Loop BB13_5 Depth=1
                                        ; =>  This Inner Loop Header: Depth=2
	v_add_u32_e32 v1, s40, v16
	v_cmp_eq_u32_e32 vcc, 0, v1
	s_and_b64 s[28:29], vcc, s[24:25]
	s_and_saveexec_b64 s[26:27], s[28:29]
	s_cbranch_execz .LBB13_15
; %bb.10:                               ;   in Loop: Header=BB13_9 Depth=2
	flat_load_dwordx2 v[5:6], v[3:4]
	ds_read_b64 v[7:8], v15
                                        ; implicit-def: $vgpr9
	s_waitcnt vmcnt(0) lgkmcnt(0)
	v_cmp_ngt_f32_e64 s[28:29], |v5|, |v6|
	s_and_saveexec_b64 s[42:43], s[28:29]
	s_xor_b64 s[28:29], exec, s[42:43]
	s_cbranch_execz .LBB13_12
; %bb.11:                               ;   in Loop: Header=BB13_9 Depth=2
	v_div_scale_f32 v9, s[42:43], v6, v6, v5
	v_div_scale_f32 v10, vcc, v5, v6, v5
	v_rcp_f32_e32 v11, v9
	v_fma_f32 v12, -v9, v11, 1.0
	v_fmac_f32_e32 v11, v12, v11
	v_mul_f32_e32 v12, v10, v11
	v_fma_f32 v13, -v9, v12, v10
	v_fmac_f32_e32 v12, v13, v11
	v_fma_f32 v9, -v9, v12, v10
	v_div_fmas_f32 v9, v9, v11, v12
	v_div_fixup_f32 v9, v9, v6, v5
	v_fmac_f32_e32 v6, v5, v9
	v_div_scale_f32 v5, s[42:43], v6, v6, 1.0
	v_div_scale_f32 v10, vcc, 1.0, v6, 1.0
	v_rcp_f32_e32 v11, v5
	v_fma_f32 v12, -v5, v11, 1.0
	v_fmac_f32_e32 v11, v12, v11
	v_mul_f32_e32 v12, v10, v11
	v_fma_f32 v13, -v5, v12, v10
	v_fmac_f32_e32 v12, v13, v11
	v_fma_f32 v5, -v5, v12, v10
	v_div_fmas_f32 v5, v5, v11, v12
	v_fma_f32 v10, v9, v7, v8
	v_fma_f32 v7, v9, v8, -v7
	v_div_fixup_f32 v5, v5, v6, 1.0
	v_mul_f32_e32 v9, v5, v10
	v_mul_f32_e32 v10, v5, v7
                                        ; implicit-def: $vgpr5_vgpr6
                                        ; implicit-def: $vgpr7_vgpr8
.LBB13_12:                              ;   in Loop: Header=BB13_9 Depth=2
	s_andn2_saveexec_b64 s[28:29], s[28:29]
	s_cbranch_execz .LBB13_14
; %bb.13:                               ;   in Loop: Header=BB13_9 Depth=2
	v_div_scale_f32 v9, s[42:43], v5, v5, v6
	v_div_scale_f32 v10, vcc, v6, v5, v6
	v_rcp_f32_e32 v11, v9
	v_fma_f32 v12, -v9, v11, 1.0
	v_fmac_f32_e32 v11, v12, v11
	v_mul_f32_e32 v12, v10, v11
	v_fma_f32 v13, -v9, v12, v10
	v_fmac_f32_e32 v12, v13, v11
	v_fma_f32 v9, -v9, v12, v10
	v_div_fmas_f32 v9, v9, v11, v12
	v_div_fixup_f32 v9, v9, v5, v6
	v_fmac_f32_e32 v5, v6, v9
	v_div_scale_f32 v6, s[42:43], v5, v5, 1.0
	v_div_scale_f32 v10, vcc, 1.0, v5, 1.0
	v_rcp_f32_e32 v11, v6
	v_fma_f32 v12, -v6, v11, 1.0
	v_fmac_f32_e32 v11, v12, v11
	v_mul_f32_e32 v12, v10, v11
	v_fma_f32 v13, -v6, v12, v10
	v_fmac_f32_e32 v12, v13, v11
	v_fma_f32 v6, -v6, v12, v10
	v_div_fmas_f32 v6, v6, v11, v12
	v_fma_f32 v10, v9, v8, v7
	v_fma_f32 v7, -v9, v7, v8
	v_div_fixup_f32 v5, v6, v5, 1.0
	v_mul_f32_e32 v9, v5, v10
	v_mul_f32_e32 v10, v5, v7
.LBB13_14:                              ;   in Loop: Header=BB13_9 Depth=2
	s_or_b64 exec, exec, s[28:29]
	ds_write_b64 v15, v[9:10]
.LBB13_15:                              ;   in Loop: Header=BB13_9 Depth=2
	s_or_b64 exec, exec, s[26:27]
	s_cmp_le_i32 s40, s31
	v_cmp_le_u32_e32 vcc, s40, v0
	s_cselect_b64 s[26:27], -1, 0
	s_or_b64 s[26:27], vcc, s[26:27]
	s_nor_b64 s[28:29], s[2:3], s[26:27]
	s_waitcnt lgkmcnt(0)
	s_barrier
	s_and_saveexec_b64 s[26:27], s[28:29]
	s_cbranch_execz .LBB13_8
; %bb.16:                               ;   in Loop: Header=BB13_9 Depth=2
	v_lshlrev_b64 v[5:6], 3, v[1:2]
	v_mov_b32_e32 v1, s41
	v_add_co_u32_e32 v5, vcc, v3, v5
	v_addc_co_u32_e32 v6, vcc, v4, v6, vcc
	flat_load_dwordx2 v[5:6], v[5:6]
	ds_read_b64 v[7:8], v1
	ds_read_b64 v[9:10], v15
	s_waitcnt vmcnt(0) lgkmcnt(0)
	v_mul_f32_e32 v1, v8, v6
	v_mul_f32_e32 v6, v7, v6
	v_fma_f32 v1, v7, v5, -v1
	v_fmac_f32_e32 v6, v8, v5
	v_sub_f32_e32 v5, v9, v1
	v_sub_f32_e32 v6, v10, v6
	ds_write_b64 v15, v[5:6]
	s_branch .LBB13_8
.LBB13_17:                              ;   in Loop: Header=BB13_5 Depth=1
	s_add_i32 s40, s30, 0xfffffe00
	s_cmp_lt_i32 s30, 1
	s_cselect_b64 s[2:3], -1, 0
	s_and_b64 vcc, exec, s[2:3]
	s_waitcnt lgkmcnt(0)
	s_barrier
	s_cbranch_vccnz .LBB13_41
; %bb.18:                               ;   in Loop: Header=BB13_5 Depth=1
	v_mad_i64_i32 v[3:4], s[24:25], v17, -8, s[4:5]
	v_ashrrev_i32_e32 v5, 31, v17
	v_mov_b32_e32 v6, s34
	v_sub_co_u32_e32 v1, vcc, s14, v17
	v_subb_co_u32_e32 v20, vcc, v6, v5, vcc
	s_mov_b64 s[24:25], 0
	v_mov_b32_e32 v21, v17
	v_mov_b32_e32 v22, v0
	s_mov_b32 s41, s40
                                        ; implicit-def: $sgpr26_sgpr27
	s_branch .LBB13_21
.LBB13_19:                              ;   in Loop: Header=BB13_21 Depth=2
	v_mad_u64_u32 v[5:6], s[30:31], s10, v24, 0
	s_add_i32 s42, s41, 0xfffffe00
	s_cmp_lt_i32 s41, 1
	v_mad_u64_u32 v[6:7], s[30:31], s11, v24, v[6:7]
	v_mov_b32_e32 v7, s58
	s_cselect_b64 s[30:31], -1, 0
	v_lshlrev_b64 v[5:6], 3, v[5:6]
	s_andn2_b64 s[26:27], s[26:27], exec
	v_add_co_u32_e32 v5, vcc, s33, v5
	v_addc_co_u32_e32 v6, vcc, v7, v6, vcc
	flat_load_dwordx2 v[7:8], v[5:6]
	v_add_co_u32_e32 v3, vcc, s39, v3
	v_addc_co_u32_e32 v4, vcc, 0, v4, vcc
	v_add_co_u32_e32 v1, vcc, 0x200, v1
	s_and_b64 s[30:31], s[30:31], exec
	v_add_u32_e32 v22, 0xfffffe00, v22
	v_add_u32_e32 v21, 0xfffffe00, v21
	v_addc_co_u32_e32 v20, vcc, 0, v20, vcc
	s_or_b64 s[26:27], s[26:27], s[30:31]
	s_mov_b32 s41, s42
	s_waitcnt vmcnt(0) lgkmcnt(0)
	v_sub_f32_e32 v7, v7, v25
	v_sub_f32_e32 v8, v8, v23
	flat_store_dwordx2 v[5:6], v[7:8]
.LBB13_20:                              ;   in Loop: Header=BB13_21 Depth=2
	s_or_b64 exec, exec, s[28:29]
	s_and_b64 s[28:29], exec, s[26:27]
	s_or_b64 s[24:25], s[28:29], s[24:25]
	s_andn2_b64 exec, exec, s[24:25]
	s_cbranch_execz .LBB13_40
.LBB13_21:                              ;   Parent Loop BB13_5 Depth=1
                                        ; =>  This Loop Header: Depth=2
                                        ;       Child Loop BB13_24 Depth 3
	v_add_u32_e32 v24, s41, v0
	v_cmp_lt_i32_e32 vcc, -1, v24
	s_or_b64 s[26:27], s[26:27], exec
	s_and_saveexec_b64 s[28:29], vcc
	s_cbranch_execz .LBB13_20
; %bb.22:                               ;   in Loop: Header=BB13_21 Depth=2
	v_mad_u64_u32 v[5:6], s[30:31], v1, v21, 0
	v_mov_b32_e32 v23, 0
	s_movk_i32 s42, 0x1000
	v_mad_u64_u32 v[6:7], s[30:31], v20, v21, v[6:7]
	s_movk_i32 s43, 0x200
	v_mov_b32_e32 v25, 0
	v_lshlrev_b64 v[5:6], 2, v[5:6]
	v_and_b32_e32 v5, -8, v5
	v_add_co_u32_e32 v5, vcc, v3, v5
	v_addc_co_u32_e32 v6, vcc, v4, v6, vcc
	s_branch .LBB13_24
.LBB13_23:                              ;   in Loop: Header=BB13_24 Depth=3
	s_or_b64 exec, exec, s[30:31]
	s_waitcnt lgkmcnt(0)
	v_add_f32_e32 v8, v23, v8
	v_add_f32_e32 v7, v25, v7
	;; [unrolled: 1-line block ×6, first 2 shown]
	s_add_i32 s42, s42, 32
	s_add_i32 s43, s43, -4
	v_add_co_u32_e32 v5, vcc, 32, v5
	v_add_f32_e32 v23, v8, v14
	v_add_f32_e32 v25, v7, v13
	s_cmp_eq_u32 s43, 0
	v_addc_co_u32_e32 v6, vcc, 0, v6, vcc
	s_cbranch_scc1 .LBB13_19
.LBB13_24:                              ;   Parent Loop BB13_5 Depth=1
                                        ;     Parent Loop BB13_21 Depth=2
                                        ; =>    This Inner Loop Header: Depth=3
	v_add_u32_e32 v13, s43, v22
	v_cmp_ne_u32_e32 vcc, s35, v13
	s_or_b64 s[30:31], s[22:23], vcc
                                        ; implicit-def: $vgpr8
	s_and_saveexec_b64 s[44:45], s[30:31]
	s_xor_b64 s[30:31], exec, s[44:45]
	s_cbranch_execz .LBB13_26
; %bb.25:                               ;   in Loop: Header=BB13_24 Depth=3
	flat_load_dwordx2 v[9:10], v[5:6]
	v_mov_b32_e32 v7, s42
	ds_read_b64 v[11:12], v7
	s_waitcnt vmcnt(0) lgkmcnt(0)
	v_mul_f32_e32 v7, v12, v10
	v_mul_f32_e32 v8, v11, v10
	v_fma_f32 v7, v11, v9, -v7
	v_fmac_f32_e32 v8, v12, v9
.LBB13_26:                              ;   in Loop: Header=BB13_24 Depth=3
	s_andn2_saveexec_b64 s[30:31], s[30:31]
; %bb.27:                               ;   in Loop: Header=BB13_24 Depth=3
	v_mov_b32_e32 v7, s42
	ds_read_b64 v[7:8], v7
; %bb.28:                               ;   in Loop: Header=BB13_24 Depth=3
	s_or_b64 exec, exec, s[30:31]
	v_cmp_ne_u32_e32 vcc, s36, v13
	s_or_b64 s[30:31], s[22:23], vcc
                                        ; implicit-def: $vgpr10
	s_and_saveexec_b64 s[44:45], s[30:31]
	s_xor_b64 s[30:31], exec, s[44:45]
	s_cbranch_execz .LBB13_30
; %bb.29:                               ;   in Loop: Header=BB13_24 Depth=3
	flat_load_dwordx2 v[11:12], v[5:6] offset:8
	v_mov_b32_e32 v9, s42
	ds_read_b64 v[26:27], v9 offset:8
	s_waitcnt vmcnt(0) lgkmcnt(0)
	v_mul_f32_e32 v9, v27, v12
	v_mul_f32_e32 v10, v26, v12
	v_fma_f32 v9, v26, v11, -v9
	v_fmac_f32_e32 v10, v27, v11
.LBB13_30:                              ;   in Loop: Header=BB13_24 Depth=3
	s_andn2_saveexec_b64 s[30:31], s[30:31]
; %bb.31:                               ;   in Loop: Header=BB13_24 Depth=3
	v_mov_b32_e32 v9, s42
	ds_read_b64 v[9:10], v9 offset:8
; %bb.32:                               ;   in Loop: Header=BB13_24 Depth=3
	s_or_b64 exec, exec, s[30:31]
	v_cmp_ne_u32_e32 vcc, s37, v13
	s_or_b64 s[30:31], s[22:23], vcc
                                        ; implicit-def: $vgpr12
	s_and_saveexec_b64 s[44:45], s[30:31]
	s_xor_b64 s[30:31], exec, s[44:45]
	s_cbranch_execz .LBB13_34
; %bb.33:                               ;   in Loop: Header=BB13_24 Depth=3
	flat_load_dwordx2 v[26:27], v[5:6] offset:16
	v_mov_b32_e32 v11, s42
	ds_read_b64 v[28:29], v11 offset:16
	s_waitcnt vmcnt(0) lgkmcnt(0)
	v_mul_f32_e32 v11, v29, v27
	v_mul_f32_e32 v12, v28, v27
	v_fma_f32 v11, v28, v26, -v11
	v_fmac_f32_e32 v12, v29, v26
.LBB13_34:                              ;   in Loop: Header=BB13_24 Depth=3
	s_andn2_saveexec_b64 s[30:31], s[30:31]
; %bb.35:                               ;   in Loop: Header=BB13_24 Depth=3
	v_mov_b32_e32 v11, s42
	ds_read_b64 v[11:12], v11 offset:16
; %bb.36:                               ;   in Loop: Header=BB13_24 Depth=3
	s_or_b64 exec, exec, s[30:31]
	v_cmp_ne_u32_e32 vcc, s38, v13
	s_or_b64 s[30:31], s[22:23], vcc
                                        ; implicit-def: $vgpr14
	s_and_saveexec_b64 s[44:45], s[30:31]
	s_xor_b64 s[30:31], exec, s[44:45]
	s_cbranch_execz .LBB13_38
; %bb.37:                               ;   in Loop: Header=BB13_24 Depth=3
	flat_load_dwordx2 v[26:27], v[5:6] offset:24
	v_mov_b32_e32 v13, s42
	ds_read_b64 v[28:29], v13 offset:24
	s_waitcnt vmcnt(0) lgkmcnt(0)
	v_mul_f32_e32 v13, v29, v27
	v_mul_f32_e32 v14, v28, v27
	v_fma_f32 v13, v28, v26, -v13
	v_fmac_f32_e32 v14, v29, v26
.LBB13_38:                              ;   in Loop: Header=BB13_24 Depth=3
	s_andn2_saveexec_b64 s[30:31], s[30:31]
	s_cbranch_execz .LBB13_23
; %bb.39:                               ;   in Loop: Header=BB13_24 Depth=3
	v_mov_b32_e32 v13, s42
	ds_read_b64 v[13:14], v13 offset:24
	s_branch .LBB13_23
.LBB13_40:                              ;   in Loop: Header=BB13_5 Depth=1
	s_or_b64 exec, exec, s[24:25]
.LBB13_41:                              ;   in Loop: Header=BB13_5 Depth=1
	s_and_saveexec_b64 s[24:25], s[0:1]
	s_cbranch_execz .LBB13_4
; %bb.42:                               ;   in Loop: Header=BB13_5 Depth=1
	v_mad_u64_u32 v[3:4], s[0:1], s10, v19, 0
	v_mov_b32_e32 v1, v4
	v_mad_u64_u32 v[4:5], s[0:1], s11, v19, v[1:2]
	ds_read_b64 v[5:6], v15
	v_mov_b32_e32 v1, s58
	v_lshlrev_b64 v[3:4], 3, v[3:4]
	v_add_co_u32_e32 v3, vcc, s33, v3
	v_addc_co_u32_e32 v4, vcc, v1, v4, vcc
	s_waitcnt lgkmcnt(0)
	flat_store_dwordx2 v[3:4], v[5:6]
	s_branch .LBB13_4
.LBB13_43:
	s_mov_b64 s[0:1], 0
.LBB13_44:
	s_andn2_b64 vcc, exec, s[0:1]
	s_cbranch_vccnz .LBB13_91
; %bb.45:
	s_andn2_b64 vcc, exec, s[8:9]
	s_cbranch_vccnz .LBB13_91
; %bb.46:
	v_mov_b32_e32 v2, 0
	v_mov_b32_e32 v1, v2
	v_mad_u64_u32 v[3:4], s[0:1], v0, v0, v[0:1]
	v_lshlrev_b32_e32 v1, 10, v0
	v_add_co_u32_e32 v7, vcc, 0x40200, v1
	v_or_b32_e32 v1, 0x200, v0
	v_mov_b32_e32 v6, v2
	v_lshlrev_b32_e32 v19, 3, v0
	v_addc_co_u32_e64 v8, s[0:1], 0, 0, vcc
	s_mov_b32 s14, 0
	v_add_u32_e32 v20, 0x201, v0
	v_mov_b32_e32 v21, s7
	s_xor_b64 s[22:23], s[12:13], -1
	v_mov_b32_e32 v5, v1
	s_mov_b64 s[24:25], s[6:7]
	s_branch .LBB13_48
.LBB13_47:                              ;   in Loop: Header=BB13_48 Depth=1
	s_or_b64 exec, exec, s[4:5]
	v_add_co_u32_e32 v9, vcc, 0x80000, v7
	v_addc_co_u32_e32 v10, vcc, 0, v8, vcc
	v_add_co_u32_e32 v3, vcc, v3, v7
	v_addc_co_u32_e32 v4, vcc, v4, v8, vcc
	v_add_co_u32_e32 v5, vcc, 0x200, v5
	s_add_u32 s24, s24, 0x1000
	v_addc_co_u32_e32 v6, vcc, 0, v6, vcc
	v_mov_b32_e32 v7, v9
	s_addc_u32 s25, s25, 0
	v_add_u32_e32 v20, 0x200, v20
	s_and_b64 vcc, exec, s[2:3]
	v_mov_b32_e32 v8, v10
	s_mov_b32 s14, s34
	s_waitcnt vmcnt(0) lgkmcnt(0)
	s_barrier
	s_cbranch_vccnz .LBB13_91
.LBB13_48:                              ; =>This Loop Header: Depth=1
                                        ;     Child Loop BB13_52 Depth 2
                                        ;     Child Loop BB13_65 Depth 2
                                        ;       Child Loop BB13_68 Depth 3
	v_add_u32_e32 v22, s14, v0
	v_cmp_le_i32_e32 vcc, s15, v22
	v_cmp_gt_i32_e64 s[0:1], s15, v22
	s_and_saveexec_b64 s[4:5], s[0:1]
	s_cbranch_execz .LBB13_50
; %bb.49:                               ;   in Loop: Header=BB13_48 Depth=1
	v_mad_u64_u32 v[9:10], s[2:3], s10, v22, 0
	v_mov_b32_e32 v1, v10
	v_mad_u64_u32 v[10:11], s[2:3], s11, v22, v[1:2]
	v_mov_b32_e32 v1, s58
	v_lshlrev_b64 v[9:10], 3, v[9:10]
	v_add_co_u32_e64 v9, s[2:3], s33, v9
	v_addc_co_u32_e64 v10, s[2:3], v1, v10, s[2:3]
	flat_load_dwordx2 v[9:10], v[9:10]
	s_waitcnt vmcnt(0) lgkmcnt(0)
	ds_write_b64 v19, v[9:10]
.LBB13_50:                              ;   in Loop: Header=BB13_48 Depth=1
	s_or_b64 exec, exec, s[4:5]
	v_lshlrev_b64 v[9:10], 2, v[3:4]
	v_mov_b32_e32 v1, s25
	v_and_b32_e32 v9, -8, v9
	v_add_co_u32_e64 v9, s[2:3], s24, v9
	v_addc_co_u32_e64 v10, s[2:3], v1, v10, s[2:3]
	v_or_b32_e32 v1, s14, v0
	v_add_u32_e32 v11, 1, v1
	v_mad_u64_u32 v[11:12], s[2:3], v11, v1, 0
	v_lshlrev_b64 v[13:14], 3, v[1:2]
	v_cmp_le_i32_e64 s[2:3], s15, v1
	v_lshlrev_b64 v[11:12], 2, v[11:12]
	v_add_co_u32_e64 v1, s[4:5], s6, v13
	v_addc_co_u32_e64 v13, s[4:5], v21, v14, s[4:5]
	v_and_b32_e32 v11, -8, v11
	v_add_co_u32_e64 v11, s[4:5], v1, v11
	v_addc_co_u32_e64 v12, s[4:5], v13, v12, s[4:5]
	s_mov_b32 s30, 0
	s_xor_b64 s[4:5], vcc, -1
	s_mov_b32 s31, 0
	s_waitcnt lgkmcnt(0)
	s_barrier
	s_branch .LBB13_52
.LBB13_51:                              ;   in Loop: Header=BB13_52 Depth=2
	s_or_b64 exec, exec, s[26:27]
	s_add_i32 s31, s31, 1
	s_add_i32 s30, s30, 8
	v_add_co_u32_e32 v9, vcc, 8, v9
	s_cmpk_eq_i32 s31, 0x200
	v_addc_co_u32_e32 v10, vcc, 0, v10, vcc
	s_cbranch_scc1 .LBB13_61
.LBB13_52:                              ;   Parent Loop BB13_48 Depth=1
                                        ; =>  This Inner Loop Header: Depth=2
	v_cmp_ne_u32_e32 vcc, s31, v0
	s_or_b64 s[26:27], s[12:13], vcc
	s_nor_b64 s[28:29], s[26:27], s[2:3]
	s_and_saveexec_b64 s[26:27], s[28:29]
	s_cbranch_execz .LBB13_58
; %bb.53:                               ;   in Loop: Header=BB13_52 Depth=2
	flat_load_dwordx2 v[13:14], v[11:12]
	ds_read_b64 v[15:16], v19
                                        ; implicit-def: $vgpr17
	s_waitcnt vmcnt(0) lgkmcnt(0)
	v_cmp_ngt_f32_e64 s[28:29], |v13|, |v14|
	s_and_saveexec_b64 s[34:35], s[28:29]
	s_xor_b64 s[28:29], exec, s[34:35]
	s_cbranch_execz .LBB13_55
; %bb.54:                               ;   in Loop: Header=BB13_52 Depth=2
	v_div_scale_f32 v1, s[34:35], v14, v14, v13
	v_div_scale_f32 v17, vcc, v13, v14, v13
	v_rcp_f32_e32 v18, v1
	v_fma_f32 v23, -v1, v18, 1.0
	v_fmac_f32_e32 v18, v23, v18
	v_mul_f32_e32 v23, v17, v18
	v_fma_f32 v24, -v1, v23, v17
	v_fmac_f32_e32 v23, v24, v18
	v_fma_f32 v1, -v1, v23, v17
	v_div_fmas_f32 v1, v1, v18, v23
	v_div_fixup_f32 v1, v1, v14, v13
	v_fmac_f32_e32 v14, v13, v1
	v_div_scale_f32 v13, s[34:35], v14, v14, 1.0
	v_div_scale_f32 v17, vcc, 1.0, v14, 1.0
	v_rcp_f32_e32 v18, v13
	v_fma_f32 v23, -v13, v18, 1.0
	v_fmac_f32_e32 v18, v23, v18
	v_mul_f32_e32 v23, v17, v18
	v_fma_f32 v24, -v13, v23, v17
	v_fmac_f32_e32 v23, v24, v18
	v_fma_f32 v13, -v13, v23, v17
	v_div_fmas_f32 v13, v13, v18, v23
	v_fma_f32 v17, v1, v15, v16
	v_fma_f32 v1, v1, v16, -v15
                                        ; implicit-def: $vgpr15_vgpr16
	v_div_fixup_f32 v13, v13, v14, 1.0
	v_mul_f32_e32 v17, v13, v17
	v_mul_f32_e32 v18, v13, v1
                                        ; implicit-def: $vgpr13_vgpr14
.LBB13_55:                              ;   in Loop: Header=BB13_52 Depth=2
	s_andn2_saveexec_b64 s[28:29], s[28:29]
	s_cbranch_execz .LBB13_57
; %bb.56:                               ;   in Loop: Header=BB13_52 Depth=2
	v_div_scale_f32 v1, s[34:35], v13, v13, v14
	v_div_scale_f32 v17, vcc, v14, v13, v14
	v_rcp_f32_e32 v18, v1
	v_fma_f32 v23, -v1, v18, 1.0
	v_fmac_f32_e32 v18, v23, v18
	v_mul_f32_e32 v23, v17, v18
	v_fma_f32 v24, -v1, v23, v17
	v_fmac_f32_e32 v23, v24, v18
	v_fma_f32 v1, -v1, v23, v17
	v_div_fmas_f32 v1, v1, v18, v23
	v_div_fixup_f32 v1, v1, v13, v14
	v_fmac_f32_e32 v13, v14, v1
	v_div_scale_f32 v14, s[34:35], v13, v13, 1.0
	v_div_scale_f32 v17, vcc, 1.0, v13, 1.0
	v_rcp_f32_e32 v18, v14
	v_fma_f32 v23, -v14, v18, 1.0
	v_fmac_f32_e32 v18, v23, v18
	v_mul_f32_e32 v23, v17, v18
	v_fma_f32 v24, -v14, v23, v17
	v_fmac_f32_e32 v23, v24, v18
	v_fma_f32 v14, -v14, v23, v17
	v_div_fmas_f32 v14, v14, v18, v23
	v_fma_f32 v17, v1, v16, v15
	v_fma_f32 v1, -v1, v15, v16
	v_div_fixup_f32 v13, v14, v13, 1.0
	v_mul_f32_e32 v17, v13, v17
	v_mul_f32_e32 v18, v13, v1
.LBB13_57:                              ;   in Loop: Header=BB13_52 Depth=2
	s_or_b64 exec, exec, s[28:29]
	ds_write_b64 v19, v[17:18]
.LBB13_58:                              ;   in Loop: Header=BB13_52 Depth=2
	s_or_b64 exec, exec, s[26:27]
	v_cmp_lt_u32_e32 vcc, s31, v0
	s_waitcnt lgkmcnt(0)
	s_barrier
	s_and_saveexec_b64 s[26:27], vcc
	s_cbranch_execz .LBB13_51
; %bb.59:                               ;   in Loop: Header=BB13_52 Depth=2
	s_add_i32 s28, s14, s31
	s_cmp_lt_i32 s28, s15
	s_cselect_b64 s[28:29], -1, 0
	s_and_b64 s[28:29], s[4:5], s[28:29]
	s_and_b64 exec, exec, s[28:29]
	s_cbranch_execz .LBB13_51
; %bb.60:                               ;   in Loop: Header=BB13_52 Depth=2
	flat_load_dwordx2 v[13:14], v[9:10]
	v_mov_b32_e32 v1, s30
	ds_read_b64 v[15:16], v1
	ds_read_b64 v[17:18], v19
	s_waitcnt vmcnt(0) lgkmcnt(0)
	v_mul_f32_e32 v1, v16, v14
	v_mul_f32_e32 v14, v15, v14
	v_fma_f32 v1, v15, v13, -v1
	v_fmac_f32_e32 v14, v16, v13
	v_sub_f32_e32 v13, v17, v1
	v_sub_f32_e32 v14, v18, v14
	ds_write_b64 v19, v[13:14]
	s_branch .LBB13_51
.LBB13_61:                              ;   in Loop: Header=BB13_48 Depth=1
	s_add_i32 s34, s14, 0x200
	s_cmp_ge_i32 s34, s15
	s_cselect_b64 s[2:3], -1, 0
	s_and_b64 vcc, exec, s[2:3]
	s_waitcnt lgkmcnt(0)
	s_barrier
	s_cbranch_vccnz .LBB13_89
; %bb.62:                               ;   in Loop: Header=BB13_48 Depth=1
	v_mov_b32_e32 v10, v6
	s_mov_b64 s[4:5], 0
	v_mov_b32_e32 v1, v20
	v_mov_b32_e32 v9, v5
	v_mov_b32_e32 v13, v0
	s_mov_b32 s35, s34
                                        ; implicit-def: $sgpr26_sgpr27
	s_branch .LBB13_65
.LBB13_63:                              ;   in Loop: Header=BB13_65 Depth=2
	v_mad_u64_u32 v[11:12], s[30:31], s10, v14, 0
	s_addk_i32 s35, 0x200
	s_cmp_ge_i32 s35, s15
	v_mad_u64_u32 v[17:18], s[30:31], s11, v14, v[12:13]
	v_mov_b32_e32 v14, s58
	s_cselect_b64 s[30:31], -1, 0
	v_mov_b32_e32 v12, v17
	v_lshlrev_b64 v[11:12], 3, v[11:12]
	s_andn2_b64 s[26:27], s[26:27], exec
	v_add_co_u32_e32 v11, vcc, s33, v11
	v_addc_co_u32_e32 v12, vcc, v14, v12, vcc
	flat_load_dwordx2 v[17:18], v[11:12]
	v_add_co_u32_e32 v9, vcc, 0x200, v9
	s_and_b64 s[30:31], s[30:31], exec
	v_add_u32_e32 v1, 0x200, v1
	v_addc_co_u32_e32 v10, vcc, 0, v10, vcc
	s_or_b64 s[26:27], s[26:27], s[30:31]
	s_waitcnt vmcnt(0) lgkmcnt(0)
	v_sub_f32_e32 v14, v17, v16
	v_sub_f32_e32 v15, v18, v15
	flat_store_dwordx2 v[11:12], v[14:15]
.LBB13_64:                              ;   in Loop: Header=BB13_65 Depth=2
	s_or_b64 exec, exec, s[28:29]
	s_and_b64 s[28:29], exec, s[26:27]
	s_or_b64 s[4:5], s[28:29], s[4:5]
	s_andn2_b64 exec, exec, s[4:5]
	s_cbranch_execz .LBB13_88
.LBB13_65:                              ;   Parent Loop BB13_48 Depth=1
                                        ; =>  This Loop Header: Depth=2
                                        ;       Child Loop BB13_68 Depth 3
	v_add_u32_e32 v14, s35, v0
	v_cmp_gt_i32_e32 vcc, s15, v14
	s_or_b64 s[26:27], s[26:27], exec
	s_and_saveexec_b64 s[28:29], vcc
	s_cbranch_execz .LBB13_64
; %bb.66:                               ;   in Loop: Header=BB13_65 Depth=2
	v_mad_u64_u32 v[11:12], s[30:31], v9, v1, 0
	v_add_u32_e32 v17, 0x1fd, v13
	v_add_u32_e32 v18, 0x1fe, v13
	v_mad_u64_u32 v[15:16], s[30:31], v10, v1, v[12:13]
	v_mov_b32_e32 v16, s25
	v_add_u32_e32 v23, 0x1ff, v13
	v_mov_b32_e32 v12, v15
	v_lshlrev_b64 v[11:12], 2, v[11:12]
	v_add_u32_e32 v13, 0x200, v13
	v_and_b32_e32 v11, -8, v11
	v_add_co_u32_e32 v11, vcc, s24, v11
	v_addc_co_u32_e32 v12, vcc, v16, v12, vcc
	v_mov_b32_e32 v15, 0
	s_mov_b32 s36, 0
	s_mov_b32 s37, 0
	v_mov_b32_e32 v16, 0
	s_branch .LBB13_68
.LBB13_67:                              ;   in Loop: Header=BB13_68 Depth=3
	s_or_b64 exec, exec, s[30:31]
	s_add_i32 s37, s37, 4
	s_add_i32 s36, s36, 32
	v_add_co_u32_e32 v11, vcc, 32, v11
	s_cmpk_eq_i32 s37, 0x200
	v_addc_co_u32_e32 v12, vcc, 0, v12, vcc
	s_cbranch_scc1 .LBB13_63
.LBB13_68:                              ;   Parent Loop BB13_48 Depth=1
                                        ;     Parent Loop BB13_65 Depth=2
                                        ; =>    This Inner Loop Header: Depth=3
	v_cmp_ne_u32_e32 vcc, s37, v13
	s_add_i32 s38, s14, s37
	s_or_b64 s[30:31], s[22:23], vcc
	s_and_saveexec_b64 s[40:41], s[30:31]
	s_xor_b64 s[30:31], exec, s[40:41]
	s_cbranch_execz .LBB13_71
; %bb.69:                               ;   in Loop: Header=BB13_68 Depth=3
	s_cmp_ge_i32 s38, s15
	s_cbranch_scc1 .LBB13_71
; %bb.70:                               ;   in Loop: Header=BB13_68 Depth=3
	flat_load_dwordx2 v[24:25], v[11:12]
	v_mov_b32_e32 v26, s36
	ds_read_b64 v[26:27], v26
	s_waitcnt vmcnt(0) lgkmcnt(0)
	v_mul_f32_e32 v28, v27, v25
	v_mul_f32_e32 v25, v26, v25
	v_fma_f32 v26, v26, v24, -v28
	v_fmac_f32_e32 v25, v27, v24
	v_add_f32_e32 v16, v16, v26
	v_add_f32_e32 v15, v15, v25
.LBB13_71:                              ;   in Loop: Header=BB13_68 Depth=3
	s_andn2_saveexec_b64 s[30:31], s[30:31]
	s_cbranch_execz .LBB13_73
; %bb.72:                               ;   in Loop: Header=BB13_68 Depth=3
	v_mov_b32_e32 v24, s36
	ds_read_b64 v[24:25], v24
	s_waitcnt lgkmcnt(0)
	v_add_f32_e32 v16, v16, v24
	v_add_f32_e32 v15, v15, v25
.LBB13_73:                              ;   in Loop: Header=BB13_68 Depth=3
	s_or_b64 exec, exec, s[30:31]
	v_cmp_ne_u32_e32 vcc, s37, v23
	s_or_b64 s[30:31], s[22:23], vcc
	s_and_saveexec_b64 s[40:41], s[30:31]
	s_xor_b64 s[30:31], exec, s[40:41]
	s_cbranch_execz .LBB13_76
; %bb.74:                               ;   in Loop: Header=BB13_68 Depth=3
	s_add_i32 s39, s38, 1
	s_cmp_ge_i32 s39, s15
	s_cbranch_scc1 .LBB13_76
; %bb.75:                               ;   in Loop: Header=BB13_68 Depth=3
	flat_load_dwordx2 v[24:25], v[11:12] offset:8
	v_mov_b32_e32 v26, s36
	ds_read_b64 v[26:27], v26 offset:8
	s_waitcnt vmcnt(0) lgkmcnt(0)
	v_mul_f32_e32 v28, v27, v25
	v_mul_f32_e32 v25, v26, v25
	v_fma_f32 v26, v26, v24, -v28
	v_fmac_f32_e32 v25, v27, v24
	v_add_f32_e32 v16, v16, v26
	v_add_f32_e32 v15, v15, v25
.LBB13_76:                              ;   in Loop: Header=BB13_68 Depth=3
	s_andn2_saveexec_b64 s[30:31], s[30:31]
	s_cbranch_execz .LBB13_78
; %bb.77:                               ;   in Loop: Header=BB13_68 Depth=3
	v_mov_b32_e32 v24, s36
	ds_read_b64 v[24:25], v24 offset:8
	s_waitcnt lgkmcnt(0)
	v_add_f32_e32 v16, v16, v24
	v_add_f32_e32 v15, v15, v25
.LBB13_78:                              ;   in Loop: Header=BB13_68 Depth=3
	s_or_b64 exec, exec, s[30:31]
	v_cmp_ne_u32_e32 vcc, s37, v18
	s_or_b64 s[30:31], s[22:23], vcc
	s_and_saveexec_b64 s[40:41], s[30:31]
	s_xor_b64 s[30:31], exec, s[40:41]
	s_cbranch_execz .LBB13_81
; %bb.79:                               ;   in Loop: Header=BB13_68 Depth=3
	s_add_i32 s39, s38, 2
	s_cmp_ge_i32 s39, s15
	s_cbranch_scc1 .LBB13_81
; %bb.80:                               ;   in Loop: Header=BB13_68 Depth=3
	flat_load_dwordx2 v[24:25], v[11:12] offset:16
	v_mov_b32_e32 v26, s36
	ds_read_b64 v[26:27], v26 offset:16
	s_waitcnt vmcnt(0) lgkmcnt(0)
	v_mul_f32_e32 v28, v27, v25
	v_mul_f32_e32 v25, v26, v25
	v_fma_f32 v26, v26, v24, -v28
	v_fmac_f32_e32 v25, v27, v24
	v_add_f32_e32 v16, v16, v26
	v_add_f32_e32 v15, v15, v25
.LBB13_81:                              ;   in Loop: Header=BB13_68 Depth=3
	s_andn2_saveexec_b64 s[30:31], s[30:31]
	s_cbranch_execz .LBB13_83
; %bb.82:                               ;   in Loop: Header=BB13_68 Depth=3
	v_mov_b32_e32 v24, s36
	ds_read_b64 v[24:25], v24 offset:16
	s_waitcnt lgkmcnt(0)
	v_add_f32_e32 v16, v16, v24
	v_add_f32_e32 v15, v15, v25
.LBB13_83:                              ;   in Loop: Header=BB13_68 Depth=3
	s_or_b64 exec, exec, s[30:31]
	v_cmp_ne_u32_e32 vcc, s37, v17
	s_or_b64 s[30:31], s[22:23], vcc
	s_and_saveexec_b64 s[40:41], s[30:31]
	s_xor_b64 s[30:31], exec, s[40:41]
	s_cbranch_execz .LBB13_86
; %bb.84:                               ;   in Loop: Header=BB13_68 Depth=3
	s_add_i32 s38, s38, 3
	s_cmp_ge_i32 s38, s15
	s_cbranch_scc1 .LBB13_86
; %bb.85:                               ;   in Loop: Header=BB13_68 Depth=3
	flat_load_dwordx2 v[24:25], v[11:12] offset:24
	v_mov_b32_e32 v26, s36
	ds_read_b64 v[26:27], v26 offset:24
	s_waitcnt vmcnt(0) lgkmcnt(0)
	v_mul_f32_e32 v28, v27, v25
	v_mul_f32_e32 v25, v26, v25
	v_fma_f32 v26, v26, v24, -v28
	v_fmac_f32_e32 v25, v27, v24
	v_add_f32_e32 v16, v16, v26
	v_add_f32_e32 v15, v15, v25
.LBB13_86:                              ;   in Loop: Header=BB13_68 Depth=3
	s_andn2_saveexec_b64 s[30:31], s[30:31]
	s_cbranch_execz .LBB13_67
; %bb.87:                               ;   in Loop: Header=BB13_68 Depth=3
	v_mov_b32_e32 v24, s36
	ds_read_b64 v[24:25], v24 offset:24
	s_waitcnt lgkmcnt(0)
	v_add_f32_e32 v16, v16, v24
	v_add_f32_e32 v15, v15, v25
	s_branch .LBB13_67
.LBB13_88:                              ;   in Loop: Header=BB13_48 Depth=1
	s_or_b64 exec, exec, s[4:5]
.LBB13_89:                              ;   in Loop: Header=BB13_48 Depth=1
	s_and_saveexec_b64 s[4:5], s[0:1]
	s_cbranch_execz .LBB13_47
; %bb.90:                               ;   in Loop: Header=BB13_48 Depth=1
	v_mad_u64_u32 v[9:10], s[0:1], s10, v22, 0
	v_mov_b32_e32 v1, v10
	v_mad_u64_u32 v[10:11], s[0:1], s11, v22, v[1:2]
	ds_read_b64 v[11:12], v19
	v_mov_b32_e32 v1, s58
	v_lshlrev_b64 v[9:10], 3, v[9:10]
	v_add_co_u32_e32 v9, vcc, s33, v9
	v_addc_co_u32_e32 v10, vcc, v1, v10, vcc
	s_waitcnt lgkmcnt(0)
	flat_store_dwordx2 v[9:10], v[11:12]
	s_branch .LBB13_47
.LBB13_91:
	s_mov_b64 s[0:1], 0
.LBB13_92:
	s_andn2_b64 vcc, exec, s[0:1]
	s_cbranch_vccnz .LBB13_166
; %bb.93:
	s_mov_b64 s[0:1], -1
	s_and_b64 vcc, exec, s[20:21]
	s_cbranch_vccz .LBB13_132
; %bb.94:
	s_andn2_b64 vcc, exec, s[8:9]
	s_cbranch_vccnz .LBB13_131
; %bb.95:
	s_lshl_b32 s20, s15, 1
	s_or_b32 s14, s20, 1
	s_ashr_i32 s21, s20, 31
	s_add_u32 s59, s16, s18
	s_addc_u32 s0, s17, s19
	v_mov_b32_e32 v15, s0
	s_lshl_b64 s[0:1], s[20:21], 9
	s_add_u32 s34, s0, 0xfffc0200
	s_addc_u32 s35, s1, -1
	s_add_u32 s28, s0, 0xfffbfe00
	s_addc_u32 s29, s1, -1
	s_lshl_b64 s[0:1], s[20:21], 1
	s_add_u32 s16, s0, -6
	v_lshlrev_b32_e32 v14, 3, v0
	s_addc_u32 s17, s1, -1
	v_add_co_u32_e32 v2, vcc, s59, v14
	s_add_u32 s18, s0, -2
	v_mov_b32_e32 v1, 0
	v_addc_co_u32_e32 v3, vcc, 0, v15, vcc
	v_or_b32_e32 v16, 0x200, v0
	s_addc_u32 s19, s1, -1
	s_mov_b64 s[22:23], -1
	s_mov_b64 s[24:25], 0
	v_mov_b32_e32 v17, s7
	s_mov_b64 s[26:27], 0
	s_mov_b64 s[30:31], s[20:21]
	;; [unrolled: 1-line block ×3, first 2 shown]
	s_branch .LBB13_97
.LBB13_96:                              ;   in Loop: Header=BB13_97 Depth=1
	s_or_b64 exec, exec, s[36:37]
	s_add_u32 s0, s34, 0xfff80000
	s_addc_u32 s1, s35, -1
	s_add_u32 s24, s24, s34
	s_addc_u32 s25, s25, s35
	s_add_u32 s30, s30, 0xfffffc00
	s_addc_u32 s31, s31, -1
	s_add_u32 s22, s22, 0xfffffe00
	s_addc_u32 s23, s23, -1
	s_add_u32 s34, s28, 0xfff80000
	s_addc_u32 s35, s29, -1
	s_add_u32 s20, s20, s28
	s_addc_u32 s21, s21, s29
	s_add_u32 s16, s16, 0xfffff800
	s_addc_u32 s17, s17, -1
	s_add_u32 s26, s26, 0xfffffe00
	s_addc_u32 s27, s27, -1
	s_add_u32 s18, s18, 0xfffff800
	v_add_u32_e32 v16, 0x200, v16
	s_addc_u32 s19, s19, -1
	s_and_b64 vcc, exec, s[4:5]
	s_mov_b64 s[28:29], s[34:35]
	s_mov_b64 s[34:35], s[0:1]
	;; [unrolled: 1-line block ×3, first 2 shown]
	s_waitcnt vmcnt(0) lgkmcnt(0)
	s_barrier
	s_cbranch_vccnz .LBB13_131
.LBB13_97:                              ; =>This Loop Header: Depth=1
                                        ;     Child Loop BB13_101 Depth 2
                                        ;     Child Loop BB13_114 Depth 2
                                        ;       Child Loop BB13_116 Depth 3
	v_add_u32_e32 v18, s36, v0
	v_cmp_le_i32_e32 vcc, s15, v18
	v_cmp_gt_i32_e64 s[0:1], s15, v18
	s_and_saveexec_b64 s[4:5], s[0:1]
	s_cbranch_execz .LBB13_99
; %bb.98:                               ;   in Loop: Header=BB13_97 Depth=1
	v_mad_u64_u32 v[4:5], s[2:3], s10, v18, 0
	v_mad_u64_u32 v[5:6], s[2:3], s11, v18, v[5:6]
	v_mov_b32_e32 v6, s58
	v_lshlrev_b64 v[4:5], 3, v[4:5]
	v_add_co_u32_e64 v4, s[2:3], s33, v4
	v_addc_co_u32_e64 v5, s[2:3], v6, v5, s[2:3]
	flat_load_dwordx2 v[4:5], v[4:5]
	s_waitcnt vmcnt(0) lgkmcnt(0)
	ds_write_b64 v14, v[4:5]
.LBB13_99:                              ;   in Loop: Header=BB13_97 Depth=1
	s_or_b64 exec, exec, s[4:5]
	v_or_b32_e32 v7, s36, v0
	v_sub_u32_e32 v6, s14, v7
	v_mad_u64_u32 v[4:5], s[2:3], v6, v7, 0
	v_ashrrev_i32_e32 v6, 31, v6
	s_mov_b32 s48, 0
	v_mad_u64_u32 v[5:6], s[2:3], v6, v7, v[5:6]
	v_cmp_le_i32_e64 s[2:3], s15, v7
	v_mov_b32_e32 v7, v3
	v_lshlrev_b64 v[4:5], 2, v[4:5]
	s_xor_b64 s[38:39], vcc, -1
	v_and_b32_e32 v4, -8, v4
	v_add_co_u32_e64 v4, s[4:5], s6, v4
	v_addc_co_u32_e64 v5, s[4:5], v17, v5, s[4:5]
	s_mov_b64 s[4:5], 0
	s_mov_b64 s[40:41], s[24:25]
	;; [unrolled: 1-line block ×3, first 2 shown]
	v_mov_b32_e32 v6, v2
	s_waitcnt lgkmcnt(0)
	s_barrier
	s_branch .LBB13_101
.LBB13_100:                             ;   in Loop: Header=BB13_101 Depth=2
	s_or_b64 exec, exec, s[44:45]
	s_add_u32 s4, s4, 1
	s_addc_u32 s5, s5, 0
	s_add_u32 s44, s42, -2
	s_addc_u32 s45, s43, -1
	s_add_u32 s40, s40, s42
	v_add_co_u32_e32 v6, vcc, -8, v6
	s_addc_u32 s41, s41, s43
	s_add_i32 s48, s48, 8
	v_addc_co_u32_e32 v7, vcc, -1, v7, vcc
	s_cmpk_eq_i32 s4, 0x200
	s_mov_b64 s[42:43], s[44:45]
	s_cbranch_scc1 .LBB13_110
.LBB13_101:                             ;   Parent Loop BB13_97 Depth=1
                                        ; =>  This Inner Loop Header: Depth=2
	v_cmp_ne_u32_e32 vcc, s4, v0
	s_or_b64 s[44:45], s[12:13], vcc
	s_nor_b64 s[46:47], s[44:45], s[2:3]
	s_and_saveexec_b64 s[44:45], s[46:47]
	s_cbranch_execz .LBB13_107
; %bb.102:                              ;   in Loop: Header=BB13_101 Depth=2
	flat_load_dwordx2 v[8:9], v[4:5]
	ds_read_b64 v[10:11], v14
                                        ; implicit-def: $vgpr12
	s_waitcnt vmcnt(0) lgkmcnt(0)
	v_cmp_ngt_f32_e64 s[46:47], |v8|, |v9|
	s_and_saveexec_b64 s[50:51], s[46:47]
	s_xor_b64 s[46:47], exec, s[50:51]
	s_cbranch_execz .LBB13_104
; %bb.103:                              ;   in Loop: Header=BB13_101 Depth=2
	v_div_scale_f32 v12, s[50:51], v9, v9, v8
	v_div_scale_f32 v13, vcc, v8, v9, v8
	v_rcp_f32_e32 v19, v12
	v_fma_f32 v20, -v12, v19, 1.0
	v_fmac_f32_e32 v19, v20, v19
	v_mul_f32_e32 v20, v13, v19
	v_fma_f32 v21, -v12, v20, v13
	v_fmac_f32_e32 v20, v21, v19
	v_fma_f32 v12, -v12, v20, v13
	v_div_fmas_f32 v12, v12, v19, v20
	v_div_fixup_f32 v12, v12, v9, v8
	v_fmac_f32_e32 v9, v8, v12
	v_div_scale_f32 v8, s[50:51], v9, v9, 1.0
	v_div_scale_f32 v13, vcc, 1.0, v9, 1.0
	v_rcp_f32_e32 v19, v8
	v_fma_f32 v20, -v8, v19, 1.0
	v_fmac_f32_e32 v19, v20, v19
	v_mul_f32_e32 v20, v13, v19
	v_fma_f32 v21, -v8, v20, v13
	v_fmac_f32_e32 v20, v21, v19
	v_fma_f32 v8, -v8, v20, v13
	v_div_fmas_f32 v8, v8, v19, v20
	v_fma_f32 v13, v12, v10, v11
	v_fma_f32 v10, v12, v11, -v10
	v_div_fixup_f32 v8, v8, v9, 1.0
	v_mul_f32_e32 v12, v8, v13
	v_mul_f32_e32 v13, v8, v10
                                        ; implicit-def: $vgpr8_vgpr9
                                        ; implicit-def: $vgpr10_vgpr11
.LBB13_104:                             ;   in Loop: Header=BB13_101 Depth=2
	s_andn2_saveexec_b64 s[46:47], s[46:47]
	s_cbranch_execz .LBB13_106
; %bb.105:                              ;   in Loop: Header=BB13_101 Depth=2
	v_div_scale_f32 v12, s[50:51], v8, v8, v9
	v_div_scale_f32 v13, vcc, v9, v8, v9
	v_rcp_f32_e32 v19, v12
	v_fma_f32 v20, -v12, v19, 1.0
	v_fmac_f32_e32 v19, v20, v19
	v_mul_f32_e32 v20, v13, v19
	v_fma_f32 v21, -v12, v20, v13
	v_fmac_f32_e32 v20, v21, v19
	v_fma_f32 v12, -v12, v20, v13
	v_div_fmas_f32 v12, v12, v19, v20
	v_div_fixup_f32 v12, v12, v8, v9
	v_fmac_f32_e32 v8, v9, v12
	v_div_scale_f32 v9, s[50:51], v8, v8, 1.0
	v_div_scale_f32 v13, vcc, 1.0, v8, 1.0
	v_rcp_f32_e32 v19, v9
	v_fma_f32 v20, -v9, v19, 1.0
	v_fmac_f32_e32 v19, v20, v19
	v_mul_f32_e32 v20, v13, v19
	v_fma_f32 v21, -v9, v20, v13
	v_fmac_f32_e32 v20, v21, v19
	v_fma_f32 v9, -v9, v20, v13
	v_div_fmas_f32 v9, v9, v19, v20
	v_fma_f32 v13, v12, v11, v10
	v_fma_f32 v10, -v12, v10, v11
	v_div_fixup_f32 v8, v9, v8, 1.0
	v_mul_f32_e32 v12, v8, v13
	v_mul_f32_e32 v13, v8, v10
.LBB13_106:                             ;   in Loop: Header=BB13_101 Depth=2
	s_or_b64 exec, exec, s[46:47]
	ds_write_b64 v14, v[12:13]
.LBB13_107:                             ;   in Loop: Header=BB13_101 Depth=2
	s_or_b64 exec, exec, s[44:45]
	v_cmp_lt_u32_e32 vcc, s4, v0
	s_waitcnt lgkmcnt(0)
	s_barrier
	s_and_saveexec_b64 s[44:45], vcc
	s_cbranch_execz .LBB13_100
; %bb.108:                              ;   in Loop: Header=BB13_101 Depth=2
	s_add_i32 s46, s36, s4
	s_cmp_lt_i32 s46, s15
	s_cselect_b64 s[46:47], -1, 0
	s_and_b64 s[46:47], s[38:39], s[46:47]
	s_and_b64 exec, exec, s[46:47]
	s_cbranch_execz .LBB13_100
; %bb.109:                              ;   in Loop: Header=BB13_101 Depth=2
	s_lshl_b64 s[46:47], s[40:41], 2
	s_and_b32 s46, s46, -8
	v_mov_b32_e32 v9, s47
	v_add_co_u32_e32 v8, vcc, s46, v6
	v_addc_co_u32_e32 v9, vcc, v7, v9, vcc
	flat_load_dwordx2 v[8:9], v[8:9]
	v_mov_b32_e32 v10, s48
	ds_read_b64 v[10:11], v10
	ds_read_b64 v[12:13], v14
	s_waitcnt vmcnt(0) lgkmcnt(0)
	v_mul_f32_e32 v19, v11, v9
	v_mul_f32_e32 v9, v10, v9
	v_fma_f32 v10, v10, v8, -v19
	v_fmac_f32_e32 v9, v11, v8
	v_sub_f32_e32 v8, v12, v10
	v_sub_f32_e32 v9, v13, v9
	ds_write_b64 v14, v[8:9]
	s_branch .LBB13_100
.LBB13_110:                             ;   in Loop: Header=BB13_97 Depth=1
	s_add_u32 s2, s36, 0x200
	s_addc_u32 s3, s37, 0
	s_cmp_ge_i32 s2, s15
	s_cselect_b64 s[4:5], -1, 0
	s_and_b64 vcc, exec, s[4:5]
	s_waitcnt lgkmcnt(0)
	s_barrier
	s_cbranch_vccnz .LBB13_129
; %bb.111:                              ;   in Loop: Header=BB13_97 Depth=1
	v_ashrrev_i32_e32 v7, 31, v16
	v_mov_b32_e32 v5, s23
	v_add_co_u32_e32 v4, vcc, s22, v16
	v_addc_co_u32_e32 v5, vcc, v5, v7, vcc
	v_lshlrev_b64 v[4:5], 3, v[4:5]
	v_mov_b32_e32 v8, s27
	v_add_co_u32_e32 v4, vcc, s59, v4
	v_addc_co_u32_e32 v5, vcc, v15, v5, vcc
	v_add_co_u32_e32 v6, vcc, s26, v16
	v_addc_co_u32_e32 v7, vcc, v8, v7, vcc
	v_lshlrev_b64 v[6:7], 3, v[6:7]
	v_mov_b32_e32 v9, v1
	v_add_co_u32_e32 v6, vcc, s59, v6
	s_mov_b32 s37, s2
	v_addc_co_u32_e32 v7, vcc, v15, v7, vcc
	s_mov_b64 s[38:39], 0
	v_mov_b32_e32 v8, v0
                                        ; implicit-def: $sgpr40_sgpr41
	s_branch .LBB13_114
.LBB13_112:                             ;   in Loop: Header=BB13_114 Depth=2
	v_mad_u64_u32 v[10:11], s[44:45], s10, v21, 0
	s_addk_i32 s37, 0x200
	s_cmp_ge_i32 s37, s15
	v_mad_u64_u32 v[11:12], s[44:45], s11, v21, v[11:12]
	v_mov_b32_e32 v12, s58
	s_cselect_b64 s[44:45], -1, 0
	v_lshlrev_b64 v[10:11], 3, v[10:11]
	s_andn2_b64 s[40:41], s[40:41], exec
	v_add_co_u32_e32 v10, vcc, s33, v10
	v_addc_co_u32_e32 v11, vcc, v12, v11, vcc
	flat_load_dwordx2 v[12:13], v[10:11]
	v_add_co_u32_e32 v4, vcc, 0x1000, v4
	v_addc_co_u32_e32 v5, vcc, 0, v5, vcc
	v_add_co_u32_e32 v6, vcc, 0x1000, v6
	s_and_b64 s[44:45], s[44:45], exec
	v_addc_co_u32_e32 v7, vcc, 0, v7, vcc
	s_or_b64 s[40:41], s[40:41], s[44:45]
	s_waitcnt vmcnt(0) lgkmcnt(0)
	v_sub_f32_e32 v12, v12, v20
	v_sub_f32_e32 v13, v13, v19
	flat_store_dwordx2 v[10:11], v[12:13]
.LBB13_113:                             ;   in Loop: Header=BB13_114 Depth=2
	s_or_b64 exec, exec, s[42:43]
	s_and_b64 s[42:43], exec, s[40:41]
	s_or_b64 s[38:39], s[42:43], s[38:39]
	s_andn2_b64 exec, exec, s[38:39]
	s_cbranch_execz .LBB13_128
.LBB13_114:                             ;   Parent Loop BB13_97 Depth=1
                                        ; =>  This Loop Header: Depth=2
                                        ;       Child Loop BB13_116 Depth 3
	v_add_u32_e32 v21, s37, v0
	v_cmp_gt_i32_e32 vcc, s15, v21
	s_or_b64 s[40:41], s[40:41], exec
	s_and_saveexec_b64 s[42:43], vcc
	s_cbranch_execz .LBB13_113
; %bb.115:                              ;   in Loop: Header=BB13_114 Depth=2
	v_add_co_u32_e32 v22, vcc, 0x1ff, v8
	v_add_co_u32_e32 v8, vcc, 0x200, v8
	v_mov_b32_e32 v11, v7
	v_mov_b32_e32 v13, v5
	v_addc_co_u32_e32 v9, vcc, 0, v9, vcc
	v_mov_b32_e32 v19, 0
	s_mov_b64 s[44:45], 0
	s_mov_b32 s60, 0
	s_mov_b64 s[46:47], s[24:25]
	s_mov_b64 s[50:51], s[18:19]
	v_mov_b32_e32 v10, v6
	s_mov_b64 s[48:49], s[20:21]
	s_mov_b64 s[52:53], s[16:17]
	v_mov_b32_e32 v12, v4
	v_mov_b32_e32 v20, 0
.LBB13_116:                             ;   Parent Loop BB13_97 Depth=1
                                        ;     Parent Loop BB13_114 Depth=2
                                        ; =>    This Inner Loop Header: Depth=3
	v_cmp_ne_u32_e32 vcc, s44, v8
	s_xor_b64 s[54:55], s[12:13], -1
	s_add_u32 s61, s36, s44
	s_or_b64 s[56:57], s[54:55], vcc
	s_and_saveexec_b64 s[62:63], s[56:57]
	s_xor_b64 s[56:57], exec, s[62:63]
	s_cbranch_execz .LBB13_119
; %bb.117:                              ;   in Loop: Header=BB13_116 Depth=3
	s_cmp_ge_i32 s61, s15
	s_cbranch_scc1 .LBB13_119
; %bb.118:                              ;   in Loop: Header=BB13_116 Depth=3
	s_lshl_b64 s[62:63], s[46:47], 2
	s_and_b32 s62, s62, -8
	v_mov_b32_e32 v24, s63
	v_add_co_u32_e32 v23, vcc, s62, v10
	v_addc_co_u32_e32 v24, vcc, v11, v24, vcc
	flat_load_dwordx2 v[23:24], v[23:24]
	v_mov_b32_e32 v25, s60
	ds_read_b64 v[25:26], v25
	s_waitcnt vmcnt(0) lgkmcnt(0)
	v_mul_f32_e32 v27, v26, v24
	v_mul_f32_e32 v24, v25, v24
	v_fma_f32 v25, v25, v23, -v27
	v_fmac_f32_e32 v24, v26, v23
	v_add_f32_e32 v20, v20, v25
	v_add_f32_e32 v19, v19, v24
.LBB13_119:                             ;   in Loop: Header=BB13_116 Depth=3
	s_andn2_saveexec_b64 s[56:57], s[56:57]
	s_cbranch_execz .LBB13_121
; %bb.120:                              ;   in Loop: Header=BB13_116 Depth=3
	v_mov_b32_e32 v23, s60
	ds_read_b64 v[23:24], v23
	s_waitcnt lgkmcnt(0)
	v_add_f32_e32 v20, v20, v23
	v_add_f32_e32 v19, v19, v24
.LBB13_121:                             ;   in Loop: Header=BB13_116 Depth=3
	s_or_b64 exec, exec, s[56:57]
	v_cmp_ne_u32_e32 vcc, s44, v22
	s_or_b64 s[54:55], s[54:55], vcc
	s_and_saveexec_b64 s[56:57], s[54:55]
	s_xor_b64 s[54:55], exec, s[56:57]
	s_cbranch_execz .LBB13_124
; %bb.122:                              ;   in Loop: Header=BB13_116 Depth=3
	s_add_i32 s61, s61, 1
	s_cmp_ge_i32 s61, s15
	s_cbranch_scc1 .LBB13_124
; %bb.123:                              ;   in Loop: Header=BB13_116 Depth=3
	s_lshl_b64 s[56:57], s[48:49], 2
	s_and_b32 s56, s56, -8
	v_mov_b32_e32 v24, s57
	v_add_co_u32_e32 v23, vcc, s56, v12
	v_addc_co_u32_e32 v24, vcc, v13, v24, vcc
	flat_load_dwordx2 v[23:24], v[23:24]
	v_mov_b32_e32 v25, s60
	ds_read_b64 v[25:26], v25 offset:8
	s_waitcnt vmcnt(0) lgkmcnt(0)
	v_mul_f32_e32 v27, v26, v24
	v_mul_f32_e32 v24, v25, v24
	v_fma_f32 v25, v25, v23, -v27
	v_fmac_f32_e32 v24, v26, v23
	v_add_f32_e32 v20, v20, v25
	v_add_f32_e32 v19, v19, v24
.LBB13_124:                             ;   in Loop: Header=BB13_116 Depth=3
	s_andn2_saveexec_b64 s[54:55], s[54:55]
	s_cbranch_execz .LBB13_126
; %bb.125:                              ;   in Loop: Header=BB13_116 Depth=3
	v_mov_b32_e32 v23, s60
	ds_read_b64 v[23:24], v23 offset:8
	s_waitcnt lgkmcnt(0)
	v_add_f32_e32 v20, v20, v23
	v_add_f32_e32 v19, v19, v24
.LBB13_126:                             ;   in Loop: Header=BB13_116 Depth=3
	s_or_b64 exec, exec, s[54:55]
	s_add_u32 s44, s44, 2
	s_addc_u32 s45, s45, 0
	s_add_u32 s54, s52, -8
	s_addc_u32 s55, s53, -1
	s_add_u32 s48, s48, s52
	s_addc_u32 s49, s49, s53
	s_add_i32 s60, s60, 16
	s_add_u32 s52, s50, -8
	v_add_co_u32_e32 v12, vcc, -16, v12
	s_addc_u32 s53, s51, -1
	v_addc_co_u32_e32 v13, vcc, -1, v13, vcc
	s_add_u32 s46, s46, s50
	s_addc_u32 s47, s47, s51
	v_add_co_u32_e32 v10, vcc, -16, v10
	s_cmpk_eq_i32 s44, 0x200
	v_addc_co_u32_e32 v11, vcc, -1, v11, vcc
	s_cbranch_scc1 .LBB13_112
; %bb.127:                              ;   in Loop: Header=BB13_116 Depth=3
	s_mov_b64 s[50:51], s[52:53]
	s_mov_b64 s[52:53], s[54:55]
	s_branch .LBB13_116
.LBB13_128:                             ;   in Loop: Header=BB13_97 Depth=1
	s_or_b64 exec, exec, s[38:39]
.LBB13_129:                             ;   in Loop: Header=BB13_97 Depth=1
	s_and_saveexec_b64 s[36:37], s[0:1]
	s_cbranch_execz .LBB13_96
; %bb.130:                              ;   in Loop: Header=BB13_97 Depth=1
	v_mad_u64_u32 v[4:5], s[0:1], s10, v18, 0
	v_mov_b32_e32 v8, s58
	v_mad_u64_u32 v[5:6], s[0:1], s11, v18, v[5:6]
	ds_read_b64 v[6:7], v14
	v_lshlrev_b64 v[4:5], 3, v[4:5]
	v_add_co_u32_e32 v4, vcc, s33, v4
	v_addc_co_u32_e32 v5, vcc, v8, v5, vcc
	s_waitcnt lgkmcnt(0)
	flat_store_dwordx2 v[4:5], v[6:7]
	s_branch .LBB13_96
.LBB13_131:
	s_mov_b64 s[0:1], 0
.LBB13_132:
	s_andn2_b64 vcc, exec, s[0:1]
	s_cbranch_vccnz .LBB13_166
; %bb.133:
	s_andn2_b64 vcc, exec, s[8:9]
	s_cbranch_vccnz .LBB13_166
; %bb.134:
	v_mov_b32_e32 v1, 0x1000
	v_mov_b32_e32 v3, 0
	s_add_i32 s28, s15, 0xfffffe00
	v_lshl_or_b32 v13, v0, 3, v1
	s_mov_b32 s26, 0
	s_mov_b32 s27, s15
	v_mov_b32_e32 v1, v3
	v_mov_b32_e32 v14, s7
	s_xor_b64 s[4:5], s[12:13], -1
	s_branch .LBB13_136
.LBB13_135:                             ;   in Loop: Header=BB13_136 Depth=1
	s_or_b64 exec, exec, s[8:9]
	s_add_u32 s27, s27, 0xfffffe00
	s_addc_u32 s26, s26, -1
	s_and_b64 vcc, exec, s[2:3]
	s_mov_b32 s28, s7
	s_waitcnt vmcnt(0) lgkmcnt(0)
	s_barrier
	s_cbranch_vccnz .LBB13_166
.LBB13_136:                             ; =>This Loop Header: Depth=1
                                        ;     Child Loop BB13_140 Depth 2
                                        ;     Child Loop BB13_152 Depth 2
                                        ;       Child Loop BB13_155 Depth 3
	v_add_u32_e32 v4, s28, v0
	v_cmp_gt_i32_e32 vcc, 0, v4
	v_cmp_lt_i32_e64 s[0:1], -1, v4
	v_mov_b32_e32 v5, v3
	s_and_saveexec_b64 s[8:9], s[0:1]
	s_cbranch_execz .LBB13_138
; %bb.137:                              ;   in Loop: Header=BB13_136 Depth=1
	v_mad_u64_u32 v[6:7], s[2:3], s10, v4, 0
	v_mov_b32_e32 v2, v7
	v_mad_u64_u32 v[7:8], s[2:3], s11, v4, v[2:3]
	v_mov_b32_e32 v2, s58
	v_lshlrev_b64 v[6:7], 3, v[6:7]
	v_add_co_u32_e64 v6, s[2:3], s33, v6
	v_addc_co_u32_e64 v7, s[2:3], v2, v7, s[2:3]
	flat_load_dwordx2 v[6:7], v[6:7]
	s_waitcnt vmcnt(0) lgkmcnt(0)
	ds_write_b64 v13, v[6:7]
.LBB13_138:                             ;   in Loop: Header=BB13_136 Depth=1
	s_or_b64 exec, exec, s[8:9]
	v_add_u32_e32 v2, 1, v4
	v_mad_u64_u32 v[8:9], s[2:3], v4, v2, 0
	v_lshlrev_b64 v[10:11], 3, v[4:5]
	v_ashrrev_i32_e32 v7, 31, v4
	v_mov_b32_e32 v6, v4
	v_add_co_u32_e64 v10, s[2:3], s6, v10
	v_lshlrev_b64 v[5:6], 3, v[6:7]
	v_addc_co_u32_e64 v11, s[2:3], v14, v11, s[2:3]
	v_lshlrev_b64 v[7:8], 2, v[8:9]
	v_add_co_u32_e64 v2, s[2:3], s6, v5
	v_addc_co_u32_e64 v15, s[2:3], v14, v6, s[2:3]
	v_and_b32_e32 v5, -8, v7
	v_add_co_u32_e64 v5, s[2:3], v10, v5
	v_addc_co_u32_e64 v6, s[2:3], v11, v8, s[2:3]
	s_or_b64 s[2:3], s[12:13], vcc
	s_movk_i32 s7, 0x1ff
	s_movk_i32 s16, 0x1ff8
	s_xor_b64 s[8:9], s[2:3], -1
	s_waitcnt lgkmcnt(0)
	s_barrier
	s_branch .LBB13_140
.LBB13_139:                             ;   in Loop: Header=BB13_140 Depth=2
	s_or_b64 exec, exec, s[2:3]
	s_add_i32 s7, s7, -1
	s_add_i32 s16, s16, -8
	s_cmp_eq_u32 s7, -1
	s_cbranch_scc1 .LBB13_148
.LBB13_140:                             ;   Parent Loop BB13_136 Depth=1
                                        ; =>  This Inner Loop Header: Depth=2
	v_cmp_eq_u32_e32 vcc, s7, v0
	s_and_b64 s[14:15], vcc, s[8:9]
	s_and_saveexec_b64 s[2:3], s[14:15]
	s_cbranch_execz .LBB13_146
; %bb.141:                              ;   in Loop: Header=BB13_140 Depth=2
	flat_load_dwordx2 v[7:8], v[5:6]
	ds_read_b64 v[9:10], v13
                                        ; implicit-def: $vgpr11
	s_waitcnt vmcnt(0) lgkmcnt(0)
	v_cmp_ngt_f32_e64 s[14:15], |v7|, |v8|
	s_and_saveexec_b64 s[18:19], s[14:15]
	s_xor_b64 s[14:15], exec, s[18:19]
	s_cbranch_execz .LBB13_143
; %bb.142:                              ;   in Loop: Header=BB13_140 Depth=2
	v_div_scale_f32 v11, s[18:19], v8, v8, v7
	v_div_scale_f32 v12, vcc, v7, v8, v7
	v_rcp_f32_e32 v16, v11
	v_fma_f32 v17, -v11, v16, 1.0
	v_fmac_f32_e32 v16, v17, v16
	v_mul_f32_e32 v17, v12, v16
	v_fma_f32 v18, -v11, v17, v12
	v_fmac_f32_e32 v17, v18, v16
	v_fma_f32 v11, -v11, v17, v12
	v_div_fmas_f32 v11, v11, v16, v17
	v_div_fixup_f32 v11, v11, v8, v7
	v_fmac_f32_e32 v8, v7, v11
	v_div_scale_f32 v7, s[18:19], v8, v8, 1.0
	v_div_scale_f32 v12, vcc, 1.0, v8, 1.0
	v_rcp_f32_e32 v16, v7
	v_fma_f32 v17, -v7, v16, 1.0
	v_fmac_f32_e32 v16, v17, v16
	v_mul_f32_e32 v17, v12, v16
	v_fma_f32 v18, -v7, v17, v12
	v_fmac_f32_e32 v17, v18, v16
	v_fma_f32 v7, -v7, v17, v12
	v_div_fmas_f32 v7, v7, v16, v17
	v_fma_f32 v12, v11, v9, v10
	v_fma_f32 v9, v11, v10, -v9
	v_div_fixup_f32 v7, v7, v8, 1.0
	v_mul_f32_e32 v11, v7, v12
	v_mul_f32_e32 v12, v7, v9
                                        ; implicit-def: $vgpr7_vgpr8
                                        ; implicit-def: $vgpr9_vgpr10
.LBB13_143:                             ;   in Loop: Header=BB13_140 Depth=2
	s_andn2_saveexec_b64 s[14:15], s[14:15]
	s_cbranch_execz .LBB13_145
; %bb.144:                              ;   in Loop: Header=BB13_140 Depth=2
	v_div_scale_f32 v11, s[18:19], v7, v7, v8
	v_div_scale_f32 v12, vcc, v8, v7, v8
	v_rcp_f32_e32 v16, v11
	v_fma_f32 v17, -v11, v16, 1.0
	v_fmac_f32_e32 v16, v17, v16
	v_mul_f32_e32 v17, v12, v16
	v_fma_f32 v18, -v11, v17, v12
	v_fmac_f32_e32 v17, v18, v16
	v_fma_f32 v11, -v11, v17, v12
	v_div_fmas_f32 v11, v11, v16, v17
	v_div_fixup_f32 v11, v11, v7, v8
	v_fmac_f32_e32 v7, v8, v11
	v_div_scale_f32 v8, s[18:19], v7, v7, 1.0
	v_div_scale_f32 v12, vcc, 1.0, v7, 1.0
	v_rcp_f32_e32 v16, v8
	v_fma_f32 v17, -v8, v16, 1.0
	v_fmac_f32_e32 v16, v17, v16
	v_mul_f32_e32 v17, v12, v16
	v_fma_f32 v18, -v8, v17, v12
	v_fmac_f32_e32 v17, v18, v16
	v_fma_f32 v8, -v8, v17, v12
	v_div_fmas_f32 v8, v8, v16, v17
	v_fma_f32 v12, v11, v10, v9
	v_fma_f32 v9, -v11, v9, v10
	v_div_fixup_f32 v7, v8, v7, 1.0
	v_mul_f32_e32 v11, v7, v12
	v_mul_f32_e32 v12, v7, v9
.LBB13_145:                             ;   in Loop: Header=BB13_140 Depth=2
	s_or_b64 exec, exec, s[14:15]
	ds_write_b64 v13, v[11:12]
.LBB13_146:                             ;   in Loop: Header=BB13_140 Depth=2
	s_or_b64 exec, exec, s[2:3]
	s_add_i32 s15, s27, s7
	s_add_i32 s14, s15, 0xfffffe00
	v_or_b32_e32 v7, s14, v4
	v_cmp_gt_u32_e32 vcc, s7, v0
	v_cmp_lt_i32_e64 s[2:3], -1, v7
	s_and_b64 s[18:19], vcc, s[2:3]
	s_waitcnt lgkmcnt(0)
	s_barrier
	s_and_saveexec_b64 s[2:3], s[18:19]
	s_cbranch_execz .LBB13_139
; %bb.147:                              ;   in Loop: Header=BB13_140 Depth=2
	s_add_i32 s17, s15, 0xfffffe01
	s_mul_hi_u32 s15, s17, s14
	s_mul_i32 s14, s17, s14
	s_lshl_b64 s[14:15], s[14:15], 2
	s_and_b32 s14, s14, -8
	v_mov_b32_e32 v8, s15
	v_add_co_u32_e32 v7, vcc, s14, v2
	v_addc_co_u32_e32 v8, vcc, v15, v8, vcc
	flat_load_dwordx2 v[7:8], v[7:8]
	v_mov_b32_e32 v9, s16
	ds_read_b64 v[9:10], v9
	ds_read_b64 v[11:12], v13
	s_waitcnt vmcnt(0) lgkmcnt(0)
	v_mul_f32_e32 v16, v10, v8
	v_mul_f32_e32 v8, v9, v8
	v_fma_f32 v9, v9, v7, -v16
	v_fmac_f32_e32 v8, v10, v7
	v_sub_f32_e32 v7, v11, v9
	v_sub_f32_e32 v8, v12, v8
	ds_write_b64 v13, v[7:8]
	s_branch .LBB13_139
.LBB13_148:                             ;   in Loop: Header=BB13_136 Depth=1
	s_add_i32 s7, s28, 0xfffffe00
	s_cmp_lt_i32 s28, 1
	s_cselect_b64 s[2:3], -1, 0
	s_and_b64 vcc, exec, s[2:3]
	s_waitcnt lgkmcnt(0)
	s_barrier
	s_cbranch_vccnz .LBB13_164
; %bb.149:                              ;   in Loop: Header=BB13_136 Depth=1
	v_mov_b32_e32 v6, v1
	s_mov_b64 s[8:9], 0
	v_mov_b32_e32 v5, v0
	s_mov_b32 s29, s7
                                        ; implicit-def: $sgpr14_sgpr15
	s_branch .LBB13_152
.LBB13_150:                             ;   in Loop: Header=BB13_152 Depth=2
	v_mad_u64_u32 v[7:8], s[18:19], s10, v2, 0
	s_add_i32 s20, s29, 0xfffffe00
	s_cmp_lt_i32 s29, 1
	v_mad_u64_u32 v[8:9], s[18:19], s11, v2, v[8:9]
	v_mov_b32_e32 v2, s58
	s_cselect_b64 s[18:19], -1, 0
	v_lshlrev_b64 v[7:8], 3, v[7:8]
	s_andn2_b64 s[14:15], s[14:15], exec
	v_add_co_u32_e32 v7, vcc, s33, v7
	v_addc_co_u32_e32 v8, vcc, v2, v8, vcc
	flat_load_dwordx2 v[9:10], v[7:8]
	v_add_co_u32_e32 v5, vcc, 0xfffffe00, v5
	s_and_b64 s[18:19], s[18:19], exec
	v_addc_co_u32_e32 v6, vcc, -1, v6, vcc
	s_or_b64 s[14:15], s[14:15], s[18:19]
	s_mov_b32 s29, s20
	s_waitcnt vmcnt(0) lgkmcnt(0)
	v_sub_f32_e32 v9, v9, v16
	v_sub_f32_e32 v10, v10, v15
	flat_store_dwordx2 v[7:8], v[9:10]
.LBB13_151:                             ;   in Loop: Header=BB13_152 Depth=2
	s_or_b64 exec, exec, s[16:17]
	s_and_b64 s[16:17], exec, s[14:15]
	s_or_b64 s[8:9], s[16:17], s[8:9]
	s_andn2_b64 exec, exec, s[8:9]
	s_cbranch_execz .LBB13_163
.LBB13_152:                             ;   Parent Loop BB13_136 Depth=1
                                        ; =>  This Loop Header: Depth=2
                                        ;       Child Loop BB13_155 Depth 3
	v_add_u32_e32 v2, s29, v0
	v_cmp_lt_i32_e32 vcc, -1, v2
	s_or_b64 s[14:15], s[14:15], exec
	s_and_saveexec_b64 s[16:17], vcc
	s_cbranch_execz .LBB13_151
; %bb.153:                              ;   in Loop: Header=BB13_152 Depth=2
	v_lshlrev_b64 v[7:8], 3, v[2:3]
	v_mov_b32_e32 v15, 0
	v_add_co_u32_e32 v17, vcc, s6, v7
	v_addc_co_u32_e32 v18, vcc, v14, v8, vcc
	v_add_co_u32_e32 v19, vcc, 0xfffffdff, v5
	v_add_co_u32_e32 v20, vcc, 0xfffffe00, v5
	s_movk_i32 s30, 0x1000
	s_mov_b64 s[18:19], 0
	v_mov_b32_e32 v16, 0
	s_branch .LBB13_155
.LBB13_154:                             ;   in Loop: Header=BB13_155 Depth=3
	s_or_b64 exec, exec, s[20:21]
	s_add_i32 s30, s30, 16
	s_add_u32 s18, s18, 2
	s_waitcnt lgkmcnt(0)
	v_add_f32_e32 v8, v15, v8
	v_add_f32_e32 v7, v16, v7
	s_addc_u32 s19, s19, 0
	v_add_f32_e32 v15, v8, v10
	s_cmpk_eq_i32 s18, 0x200
	v_add_f32_e32 v16, v7, v9
	s_cbranch_scc1 .LBB13_150
.LBB13_155:                             ;   Parent Loop BB13_136 Depth=1
                                        ;     Parent Loop BB13_152 Depth=2
                                        ; =>    This Inner Loop Header: Depth=3
	v_cmp_ne_u32_e32 vcc, s18, v20
	s_or_b64 s[24:25], s[4:5], vcc
                                        ; implicit-def: $vgpr8
                                        ; implicit-def: $sgpr20_sgpr21
                                        ; implicit-def: $sgpr22_sgpr23
	s_and_saveexec_b64 s[34:35], s[24:25]
	s_xor_b64 s[24:25], exec, s[34:35]
	s_cbranch_execz .LBB13_157
; %bb.156:                              ;   in Loop: Header=BB13_155 Depth=3
	s_add_u32 s20, s27, s18
	s_addc_u32 s21, s26, s19
	s_add_u32 s22, s20, 0xfffffe01
	s_addc_u32 s23, s21, 0
	;; [unrolled: 2-line block ×3, first 2 shown]
	s_mul_i32 s34, s22, s34
	s_mul_hi_u32 s35, s22, s31
	s_add_i32 s35, s35, s34
	s_mul_i32 s34, s22, s31
	s_lshl_b64 s[34:35], s[34:35], 2
	s_and_b32 s31, s34, -8
	v_mov_b32_e32 v8, s35
	v_add_co_u32_e32 v7, vcc, s31, v17
	v_addc_co_u32_e32 v8, vcc, v18, v8, vcc
	flat_load_dwordx2 v[9:10], v[7:8]
	v_mov_b32_e32 v7, s30
	ds_read_b64 v[11:12], v7
	s_waitcnt vmcnt(0) lgkmcnt(0)
	v_mul_f32_e32 v7, v12, v10
	v_mul_f32_e32 v8, v11, v10
	v_fma_f32 v7, v11, v9, -v7
	v_fmac_f32_e32 v8, v12, v9
.LBB13_157:                             ;   in Loop: Header=BB13_155 Depth=3
	s_or_saveexec_b64 s[24:25], s[24:25]
	v_mov_b32_e32 v9, s22
	v_mov_b32_e32 v11, s20
	;; [unrolled: 1-line block ×4, first 2 shown]
	s_xor_b64 exec, exec, s[24:25]
	s_cbranch_execz .LBB13_159
; %bb.158:                              ;   in Loop: Header=BB13_155 Depth=3
	v_mov_b32_e32 v7, s30
	ds_read_b64 v[7:8], v7
	s_add_u32 s20, s27, s18
	s_addc_u32 s21, s26, s19
	s_add_u32 s22, s20, 0xfffffe01
	s_addc_u32 s23, s21, 0
	v_mov_b32_e32 v9, s22
	v_mov_b32_e32 v11, s20
	;; [unrolled: 1-line block ×4, first 2 shown]
.LBB13_159:                             ;   in Loop: Header=BB13_155 Depth=3
	s_or_b64 exec, exec, s[24:25]
	v_cmp_ne_u32_e32 vcc, s18, v19
	s_or_b64 s[20:21], s[4:5], vcc
                                        ; implicit-def: $vgpr10
	s_and_saveexec_b64 s[22:23], s[20:21]
	s_xor_b64 s[20:21], exec, s[22:23]
	s_cbranch_execz .LBB13_161
; %bb.160:                              ;   in Loop: Header=BB13_155 Depth=3
	v_add_u32_e32 v10, 0xfffffe02, v11
	v_mad_u64_u32 v[9:10], s[22:23], v10, v9, 0
	v_lshlrev_b64 v[9:10], 2, v[9:10]
	v_and_b32_e32 v9, -8, v9
	v_add_co_u32_e32 v9, vcc, v17, v9
	v_addc_co_u32_e32 v10, vcc, v18, v10, vcc
	flat_load_dwordx2 v[11:12], v[9:10]
	v_mov_b32_e32 v9, s30
	ds_read_b64 v[21:22], v9 offset:8
	s_waitcnt vmcnt(0) lgkmcnt(0)
	v_mul_f32_e32 v9, v22, v12
	v_mul_f32_e32 v10, v21, v12
	v_fma_f32 v9, v21, v11, -v9
	v_fmac_f32_e32 v10, v22, v11
.LBB13_161:                             ;   in Loop: Header=BB13_155 Depth=3
	s_andn2_saveexec_b64 s[20:21], s[20:21]
	s_cbranch_execz .LBB13_154
; %bb.162:                              ;   in Loop: Header=BB13_155 Depth=3
	v_mov_b32_e32 v9, s30
	ds_read_b64 v[9:10], v9 offset:8
	s_branch .LBB13_154
.LBB13_163:                             ;   in Loop: Header=BB13_136 Depth=1
	s_or_b64 exec, exec, s[8:9]
.LBB13_164:                             ;   in Loop: Header=BB13_136 Depth=1
	s_and_saveexec_b64 s[8:9], s[0:1]
	s_cbranch_execz .LBB13_135
; %bb.165:                              ;   in Loop: Header=BB13_136 Depth=1
	v_mad_u64_u32 v[5:6], s[0:1], s10, v4, 0
	v_mov_b32_e32 v2, v6
	v_mad_u64_u32 v[6:7], s[0:1], s11, v4, v[2:3]
	ds_read_b64 v[7:8], v13
	v_mov_b32_e32 v2, s58
	v_lshlrev_b64 v[4:5], 3, v[5:6]
	v_add_co_u32_e32 v4, vcc, s33, v4
	v_addc_co_u32_e32 v5, vcc, v2, v5, vcc
	s_waitcnt lgkmcnt(0)
	flat_store_dwordx2 v[4:5], v[7:8]
	s_branch .LBB13_135
.LBB13_166:
	s_endpgm
	.section	.rodata,"a",@progbits
	.p2align	6, 0x0
	.amdhsa_kernel _ZL19rocblas_tpsv_kernelILb0ELi512EPKPK19rocblas_complex_numIfEPKPS1_Ev18rocblas_operation_bbiT1_llT2_lll
		.amdhsa_group_segment_fixed_size 8192
		.amdhsa_private_segment_fixed_size 0
		.amdhsa_kernarg_size 72
		.amdhsa_user_sgpr_count 6
		.amdhsa_user_sgpr_private_segment_buffer 1
		.amdhsa_user_sgpr_dispatch_ptr 0
		.amdhsa_user_sgpr_queue_ptr 0
		.amdhsa_user_sgpr_kernarg_segment_ptr 1
		.amdhsa_user_sgpr_dispatch_id 0
		.amdhsa_user_sgpr_flat_scratch_init 0
		.amdhsa_user_sgpr_private_segment_size 0
		.amdhsa_uses_dynamic_stack 0
		.amdhsa_system_sgpr_private_segment_wavefront_offset 0
		.amdhsa_system_sgpr_workgroup_id_x 1
		.amdhsa_system_sgpr_workgroup_id_y 0
		.amdhsa_system_sgpr_workgroup_id_z 0
		.amdhsa_system_sgpr_workgroup_info 0
		.amdhsa_system_vgpr_workitem_id 0
		.amdhsa_next_free_vgpr 30
		.amdhsa_next_free_sgpr 64
		.amdhsa_reserve_vcc 1
		.amdhsa_reserve_flat_scratch 0
		.amdhsa_float_round_mode_32 0
		.amdhsa_float_round_mode_16_64 0
		.amdhsa_float_denorm_mode_32 3
		.amdhsa_float_denorm_mode_16_64 3
		.amdhsa_dx10_clamp 1
		.amdhsa_ieee_mode 1
		.amdhsa_fp16_overflow 0
		.amdhsa_exception_fp_ieee_invalid_op 0
		.amdhsa_exception_fp_denorm_src 0
		.amdhsa_exception_fp_ieee_div_zero 0
		.amdhsa_exception_fp_ieee_overflow 0
		.amdhsa_exception_fp_ieee_underflow 0
		.amdhsa_exception_fp_ieee_inexact 0
		.amdhsa_exception_int_div_zero 0
	.end_amdhsa_kernel
	.section	.text._ZL19rocblas_tpsv_kernelILb0ELi512EPKPK19rocblas_complex_numIfEPKPS1_Ev18rocblas_operation_bbiT1_llT2_lll,"axG",@progbits,_ZL19rocblas_tpsv_kernelILb0ELi512EPKPK19rocblas_complex_numIfEPKPS1_Ev18rocblas_operation_bbiT1_llT2_lll,comdat
.Lfunc_end13:
	.size	_ZL19rocblas_tpsv_kernelILb0ELi512EPKPK19rocblas_complex_numIfEPKPS1_Ev18rocblas_operation_bbiT1_llT2_lll, .Lfunc_end13-_ZL19rocblas_tpsv_kernelILb0ELi512EPKPK19rocblas_complex_numIfEPKPS1_Ev18rocblas_operation_bbiT1_llT2_lll
                                        ; -- End function
	.set _ZL19rocblas_tpsv_kernelILb0ELi512EPKPK19rocblas_complex_numIfEPKPS1_Ev18rocblas_operation_bbiT1_llT2_lll.num_vgpr, 30
	.set _ZL19rocblas_tpsv_kernelILb0ELi512EPKPK19rocblas_complex_numIfEPKPS1_Ev18rocblas_operation_bbiT1_llT2_lll.num_agpr, 0
	.set _ZL19rocblas_tpsv_kernelILb0ELi512EPKPK19rocblas_complex_numIfEPKPS1_Ev18rocblas_operation_bbiT1_llT2_lll.numbered_sgpr, 64
	.set _ZL19rocblas_tpsv_kernelILb0ELi512EPKPK19rocblas_complex_numIfEPKPS1_Ev18rocblas_operation_bbiT1_llT2_lll.num_named_barrier, 0
	.set _ZL19rocblas_tpsv_kernelILb0ELi512EPKPK19rocblas_complex_numIfEPKPS1_Ev18rocblas_operation_bbiT1_llT2_lll.private_seg_size, 0
	.set _ZL19rocblas_tpsv_kernelILb0ELi512EPKPK19rocblas_complex_numIfEPKPS1_Ev18rocblas_operation_bbiT1_llT2_lll.uses_vcc, 1
	.set _ZL19rocblas_tpsv_kernelILb0ELi512EPKPK19rocblas_complex_numIfEPKPS1_Ev18rocblas_operation_bbiT1_llT2_lll.uses_flat_scratch, 0
	.set _ZL19rocblas_tpsv_kernelILb0ELi512EPKPK19rocblas_complex_numIfEPKPS1_Ev18rocblas_operation_bbiT1_llT2_lll.has_dyn_sized_stack, 0
	.set _ZL19rocblas_tpsv_kernelILb0ELi512EPKPK19rocblas_complex_numIfEPKPS1_Ev18rocblas_operation_bbiT1_llT2_lll.has_recursion, 0
	.set _ZL19rocblas_tpsv_kernelILb0ELi512EPKPK19rocblas_complex_numIfEPKPS1_Ev18rocblas_operation_bbiT1_llT2_lll.has_indirect_call, 0
	.section	.AMDGPU.csdata,"",@progbits
; Kernel info:
; codeLenInByte = 7276
; TotalNumSgprs: 68
; NumVgprs: 30
; ScratchSize: 0
; MemoryBound: 0
; FloatMode: 240
; IeeeMode: 1
; LDSByteSize: 8192 bytes/workgroup (compile time only)
; SGPRBlocks: 8
; VGPRBlocks: 7
; NumSGPRsForWavesPerEU: 68
; NumVGPRsForWavesPerEU: 30
; Occupancy: 8
; WaveLimiterHint : 1
; COMPUTE_PGM_RSRC2:SCRATCH_EN: 0
; COMPUTE_PGM_RSRC2:USER_SGPR: 6
; COMPUTE_PGM_RSRC2:TRAP_HANDLER: 0
; COMPUTE_PGM_RSRC2:TGID_X_EN: 1
; COMPUTE_PGM_RSRC2:TGID_Y_EN: 0
; COMPUTE_PGM_RSRC2:TGID_Z_EN: 0
; COMPUTE_PGM_RSRC2:TIDIG_COMP_CNT: 0
	.section	.text._ZL19rocblas_tpsv_kernelILb1ELi512EPKPK19rocblas_complex_numIdEPKPS1_Ev18rocblas_operation_bbiT1_llT2_lll,"axG",@progbits,_ZL19rocblas_tpsv_kernelILb1ELi512EPKPK19rocblas_complex_numIdEPKPS1_Ev18rocblas_operation_bbiT1_llT2_lll,comdat
	.globl	_ZL19rocblas_tpsv_kernelILb1ELi512EPKPK19rocblas_complex_numIdEPKPS1_Ev18rocblas_operation_bbiT1_llT2_lll ; -- Begin function _ZL19rocblas_tpsv_kernelILb1ELi512EPKPK19rocblas_complex_numIdEPKPS1_Ev18rocblas_operation_bbiT1_llT2_lll
	.p2align	8
	.type	_ZL19rocblas_tpsv_kernelILb1ELi512EPKPK19rocblas_complex_numIdEPKPS1_Ev18rocblas_operation_bbiT1_llT2_lll,@function
_ZL19rocblas_tpsv_kernelILb1ELi512EPKPK19rocblas_complex_numIdEPKPS1_Ev18rocblas_operation_bbiT1_llT2_lll: ; @_ZL19rocblas_tpsv_kernelILb1ELi512EPKPK19rocblas_complex_numIdEPKPS1_Ev18rocblas_operation_bbiT1_llT2_lll
; %bb.0:
	s_load_dwordx2 s[22:23], s[4:5], 0x0
	s_load_dwordx2 s[14:15], s[4:5], 0x4
	s_load_dwordx4 s[0:3], s[4:5], 0x10
	s_load_dwordx2 s[24:25], s[4:5], 0x28
	s_mov_b32 s7, 0
	s_waitcnt lgkmcnt(0)
	s_bitcmp1_b32 s23, 0
	s_cselect_b64 s[8:9], -1, 0
	s_xor_b64 s[20:21], s[8:9], -1
	s_bitcmp1_b32 s14, 8
	s_cselect_b64 s[12:13], -1, 0
	s_lshl_b64 s[26:27], s[6:7], 3
	s_add_u32 s0, s0, s26
	s_addc_u32 s1, s1, s27
	s_load_dwordx2 s[16:17], s[0:1], 0x0
	s_load_dwordx4 s[8:11], s[4:5], 0x30
	s_lshl_b64 s[18:19], s[2:3], 4
	s_waitcnt lgkmcnt(0)
	s_add_u32 s6, s16, s18
	s_addc_u32 s7, s17, s19
	s_add_u32 s0, s24, s26
	s_addc_u32 s1, s25, s27
	s_load_dwordx2 s[0:1], s[0:1], 0x0
	s_lshl_b64 s[2:3], s[8:9], 4
	s_waitcnt lgkmcnt(0)
	s_add_u32 s33, s0, s2
	s_addc_u32 s58, s1, s3
	s_cmp_gt_i32 s15, 0
	s_cselect_b64 s[8:9], -1, 0
	s_cmpk_lg_i32 s22, 0x6f
	s_mov_b64 s[0:1], -1
	s_cbranch_scc0 .LBB14_82
; %bb.1:
	s_and_b64 vcc, exec, s[20:21]
	s_cbranch_vccz .LBB14_44
; %bb.2:
	s_andn2_b64 vcc, exec, s[8:9]
	s_cbranch_vccnz .LBB14_43
; %bb.3:
	v_lshlrev_b32_e32 v1, 4, v0
	v_or_b32_e32 v25, 0x6000, v1
	v_mov_b32_e32 v2, s19
	v_sub_co_u32_e32 v1, vcc, s18, v1
	v_subbrev_co_u32_e32 v2, vcc, 0, v2, vcc
	v_mov_b32_e32 v3, s17
	v_add_co_u32_e32 v1, vcc, s16, v1
	v_addc_co_u32_e32 v2, vcc, v3, v2, vcc
	s_movk_i32 s0, 0x1ff8
	s_lshl_b32 s2, s15, 1
	v_add_co_u32_e32 v26, vcc, s0, v1
	s_ashr_i32 s1, s15, 31
	s_mov_b32 s0, s15
	s_add_i32 s28, s15, 0xfffffe00
	s_or_b32 s14, s2, 1
	s_lshl_b64 s[0:1], s[0:1], 4
	s_add_u32 s0, s18, s0
	s_addc_u32 s1, s19, s1
	s_add_u32 s0, s16, s0
	v_sub_u32_e32 v1, s15, v0
	s_addc_u32 s1, s17, s1
	v_add_u32_e32 v28, 0x201, v1
	v_add_u32_e32 v1, s15, v0
	s_add_u32 s4, s0, 0xffffe000
	v_addc_co_u32_e32 v27, vcc, 0, v2, vcc
	v_add_u32_e32 v29, 0xfffffe00, v1
	s_addc_u32 s5, s1, -1
	v_add_u32_e32 v30, 0xfffffc00, v1
	s_ashr_i32 s34, s2, 31
	v_mov_b32_e32 v31, s7
	s_movk_i32 s35, 0x400
	s_movk_i32 s36, 0x401
	s_movk_i32 s37, 0x402
	s_movk_i32 s38, 0x403
	s_movk_i32 s39, 0x2000
	s_branch .LBB14_5
.LBB14_4:                               ;   in Loop: Header=BB14_5 Depth=1
	s_or_b64 exec, exec, s[22:23]
	s_add_u32 s4, s4, 0xffffe000
	v_add_u32_e32 v28, 0x200, v28
	v_add_u32_e32 v29, 0xfffffe00, v29
	s_addc_u32 s5, s5, -1
	v_add_u32_e32 v30, 0xfffffe00, v30
	s_andn2_b64 vcc, exec, s[2:3]
	s_mov_b32 s28, s40
	s_waitcnt vmcnt(0) lgkmcnt(0)
	s_barrier
	s_cbranch_vccz .LBB14_43
.LBB14_5:                               ; =>This Loop Header: Depth=1
                                        ;     Child Loop BB14_9 Depth 2
                                        ;     Child Loop BB14_21 Depth 2
                                        ;       Child Loop BB14_24 Depth 3
	v_add_u32_e32 v32, s28, v0
	v_cmp_gt_i32_e32 vcc, 0, v32
	v_cmp_lt_i32_e64 s[0:1], -1, v32
	s_and_saveexec_b64 s[22:23], s[0:1]
	s_cbranch_execz .LBB14_7
; %bb.6:                                ;   in Loop: Header=BB14_5 Depth=1
	v_mad_u64_u32 v[1:2], s[2:3], s10, v32, 0
	v_mad_u64_u32 v[2:3], s[2:3], s11, v32, v[2:3]
	v_mov_b32_e32 v3, s58
	v_lshlrev_b64 v[1:2], 4, v[1:2]
	v_add_co_u32_e64 v1, s[2:3], s33, v1
	v_addc_co_u32_e64 v2, s[2:3], v3, v2, s[2:3]
	flat_load_dwordx4 v[1:4], v[1:2]
	s_waitcnt vmcnt(0) lgkmcnt(0)
	ds_write2_b64 v25, v[1:2], v[3:4] offset1:1
.LBB14_7:                               ;   in Loop: Header=BB14_5 Depth=1
	s_or_b64 exec, exec, s[22:23]
	v_mad_u64_u32 v[1:2], s[2:3], v28, v29, 0
	v_ashrrev_i32_e32 v3, 31, v28
	v_sub_u32_e32 v5, s14, v32
	v_mad_u64_u32 v[2:3], s[2:3], v3, v29, v[2:3]
	v_mad_u64_u32 v[3:4], s[2:3], v5, v32, 0
	v_lshlrev_b64 v[1:2], 3, v[1:2]
	s_movk_i32 s29, 0x1ff
	v_and_b32_e32 v1, -16, v1
	v_add_co_u32_e64 v15, s[2:3], v26, v1
	v_addc_co_u32_e64 v16, s[2:3], v27, v2, s[2:3]
	v_ashrrev_i32_e32 v2, 31, v5
	v_mov_b32_e32 v1, v4
	v_mad_u64_u32 v[1:2], s[2:3], v2, v32, v[1:2]
	s_not_b32 s2, s28
	v_max_i32_e32 v17, s2, v0
	v_mov_b32_e32 v4, v1
	v_lshlrev_b64 v[1:2], 3, v[3:4]
	s_movk_i32 s30, 0x7ff0
	v_and_b32_e32 v1, -16, v1
	v_add_co_u32_e64 v13, s[2:3], s6, v1
	v_addc_co_u32_e64 v14, s[2:3], v31, v2, s[2:3]
	s_or_b64 s[2:3], vcc, s[12:13]
	s_xor_b64 s[2:3], s[2:3], -1
	s_xor_b64 s[22:23], vcc, -1
	s_waitcnt lgkmcnt(0)
	s_barrier
	s_branch .LBB14_9
.LBB14_8:                               ;   in Loop: Header=BB14_9 Depth=2
	s_or_b64 exec, exec, s[24:25]
	s_add_i32 s29, s29, -1
	s_add_i32 s30, s30, -16
	v_add_co_u32_e32 v15, vcc, -16, v15
	s_cmp_eq_u32 s29, -1
	v_addc_co_u32_e32 v16, vcc, -1, v16, vcc
	s_cbranch_scc1 .LBB14_17
.LBB14_9:                               ;   Parent Loop BB14_5 Depth=1
                                        ; =>  This Inner Loop Header: Depth=2
	v_cmp_eq_u32_e32 vcc, s29, v0
	s_and_b64 s[26:27], vcc, s[2:3]
	s_and_saveexec_b64 s[24:25], s[26:27]
	s_cbranch_execz .LBB14_15
; %bb.10:                               ;   in Loop: Header=BB14_9 Depth=2
	flat_load_dwordx4 v[5:8], v[13:14]
	ds_read_b128 v[1:4], v25
                                        ; implicit-def: $vgpr9_vgpr10
	s_waitcnt vmcnt(0) lgkmcnt(0)
	v_cmp_ngt_f64_e64 s[26:27], |v[5:6]|, |v[7:8]|
	s_and_saveexec_b64 s[40:41], s[26:27]
	s_xor_b64 s[26:27], exec, s[40:41]
	s_cbranch_execz .LBB14_12
; %bb.11:                               ;   in Loop: Header=BB14_9 Depth=2
	v_div_scale_f64 v[9:10], s[40:41], -v[7:8], -v[7:8], v[5:6]
	v_rcp_f64_e32 v[11:12], v[9:10]
	v_fma_f64 v[18:19], -v[9:10], v[11:12], 1.0
	v_fma_f64 v[11:12], v[11:12], v[18:19], v[11:12]
	v_div_scale_f64 v[18:19], vcc, v[5:6], -v[7:8], v[5:6]
	v_fma_f64 v[20:21], -v[9:10], v[11:12], 1.0
	v_fma_f64 v[11:12], v[11:12], v[20:21], v[11:12]
	v_mul_f64 v[20:21], v[18:19], v[11:12]
	v_fma_f64 v[9:10], -v[9:10], v[20:21], v[18:19]
	v_div_fmas_f64 v[9:10], v[9:10], v[11:12], v[20:21]
	v_div_fixup_f64 v[9:10], v[9:10], -v[7:8], v[5:6]
	v_fma_f64 v[5:6], v[5:6], v[9:10], -v[7:8]
	v_div_scale_f64 v[7:8], s[40:41], v[5:6], v[5:6], 1.0
	v_rcp_f64_e32 v[11:12], v[7:8]
	v_fma_f64 v[18:19], -v[7:8], v[11:12], 1.0
	v_fma_f64 v[11:12], v[11:12], v[18:19], v[11:12]
	v_div_scale_f64 v[18:19], vcc, 1.0, v[5:6], 1.0
	v_fma_f64 v[20:21], -v[7:8], v[11:12], 1.0
	v_fma_f64 v[11:12], v[11:12], v[20:21], v[11:12]
	v_mul_f64 v[20:21], v[18:19], v[11:12]
	v_fma_f64 v[7:8], -v[7:8], v[20:21], v[18:19]
	v_div_fmas_f64 v[7:8], v[7:8], v[11:12], v[20:21]
	v_fma_f64 v[11:12], v[9:10], v[1:2], v[3:4]
	v_fma_f64 v[1:2], v[9:10], v[3:4], -v[1:2]
	v_div_fixup_f64 v[5:6], v[7:8], v[5:6], 1.0
	v_mul_f64 v[9:10], v[11:12], v[5:6]
	v_mul_f64 v[11:12], v[5:6], v[1:2]
                                        ; implicit-def: $vgpr5_vgpr6
                                        ; implicit-def: $vgpr3_vgpr4
.LBB14_12:                              ;   in Loop: Header=BB14_9 Depth=2
	s_andn2_saveexec_b64 s[26:27], s[26:27]
	s_cbranch_execz .LBB14_14
; %bb.13:                               ;   in Loop: Header=BB14_9 Depth=2
	v_div_scale_f64 v[9:10], s[40:41], v[5:6], v[5:6], -v[7:8]
	v_rcp_f64_e32 v[11:12], v[9:10]
	v_fma_f64 v[18:19], -v[9:10], v[11:12], 1.0
	v_fma_f64 v[11:12], v[11:12], v[18:19], v[11:12]
	v_div_scale_f64 v[18:19], vcc, -v[7:8], v[5:6], -v[7:8]
	v_fma_f64 v[20:21], -v[9:10], v[11:12], 1.0
	v_fma_f64 v[11:12], v[11:12], v[20:21], v[11:12]
	v_mul_f64 v[20:21], v[18:19], v[11:12]
	v_fma_f64 v[9:10], -v[9:10], v[20:21], v[18:19]
	v_div_fmas_f64 v[9:10], v[9:10], v[11:12], v[20:21]
	v_div_fixup_f64 v[9:10], v[9:10], v[5:6], -v[7:8]
	v_fma_f64 v[5:6], -v[7:8], v[9:10], v[5:6]
	v_div_scale_f64 v[7:8], s[40:41], v[5:6], v[5:6], 1.0
	v_rcp_f64_e32 v[11:12], v[7:8]
	v_fma_f64 v[18:19], -v[7:8], v[11:12], 1.0
	v_fma_f64 v[11:12], v[11:12], v[18:19], v[11:12]
	v_div_scale_f64 v[18:19], vcc, 1.0, v[5:6], 1.0
	v_fma_f64 v[20:21], -v[7:8], v[11:12], 1.0
	v_fma_f64 v[11:12], v[11:12], v[20:21], v[11:12]
	v_mul_f64 v[20:21], v[18:19], v[11:12]
	v_fma_f64 v[7:8], -v[7:8], v[20:21], v[18:19]
	v_div_fmas_f64 v[7:8], v[7:8], v[11:12], v[20:21]
	v_fma_f64 v[11:12], v[9:10], v[3:4], v[1:2]
	v_fma_f64 v[1:2], -v[9:10], v[1:2], v[3:4]
	v_div_fixup_f64 v[5:6], v[7:8], v[5:6], 1.0
	v_mul_f64 v[9:10], v[5:6], v[11:12]
	v_mul_f64 v[11:12], v[1:2], v[5:6]
.LBB14_14:                              ;   in Loop: Header=BB14_9 Depth=2
	s_or_b64 exec, exec, s[26:27]
	ds_write_b128 v25, v[9:12]
.LBB14_15:                              ;   in Loop: Header=BB14_9 Depth=2
	s_or_b64 exec, exec, s[24:25]
	v_cmp_gt_u32_e32 vcc, s29, v17
	s_and_b64 s[26:27], s[22:23], vcc
	s_waitcnt lgkmcnt(0)
	s_barrier
	s_and_saveexec_b64 s[24:25], s[26:27]
	s_cbranch_execz .LBB14_8
; %bb.16:                               ;   in Loop: Header=BB14_9 Depth=2
	v_add_co_u32_e32 v1, vcc, -8, v15
	v_addc_co_u32_e32 v2, vcc, -1, v16, vcc
	flat_load_dwordx4 v[1:4], v[1:2]
	v_mov_b32_e32 v5, s30
	ds_read_b128 v[5:8], v5
	s_waitcnt vmcnt(0) lgkmcnt(0)
	v_mul_f64 v[9:10], v[3:4], v[7:8]
	v_mul_f64 v[3:4], v[3:4], v[5:6]
	v_fma_f64 v[5:6], v[1:2], v[5:6], v[9:10]
	v_fma_f64 v[7:8], v[1:2], v[7:8], -v[3:4]
	ds_read_b128 v[1:4], v25
	s_waitcnt lgkmcnt(0)
	v_add_f64 v[1:2], v[1:2], -v[5:6]
	v_add_f64 v[3:4], v[3:4], -v[7:8]
	ds_write_b128 v25, v[1:4]
	s_branch .LBB14_8
.LBB14_17:                              ;   in Loop: Header=BB14_5 Depth=1
	s_add_i32 s40, s28, 0xfffffe00
	s_cmp_lt_i32 s28, 1
	s_cselect_b64 s[2:3], -1, 0
	s_and_b64 vcc, exec, s[2:3]
	s_waitcnt lgkmcnt(0)
	s_barrier
	s_cbranch_vccnz .LBB14_41
; %bb.18:                               ;   in Loop: Header=BB14_5 Depth=1
	v_mad_i64_i32 v[17:18], s[22:23], v30, -16, s[4:5]
	v_ashrrev_i32_e32 v1, 31, v30
	v_mov_b32_e32 v2, s34
	v_sub_co_u32_e32 v33, vcc, s14, v30
	v_subb_co_u32_e32 v34, vcc, v2, v1, vcc
	s_mov_b64 s[22:23], 0
	v_mov_b32_e32 v35, v30
	v_mov_b32_e32 v36, v0
	s_mov_b32 s41, s40
                                        ; implicit-def: $sgpr24_sgpr25
	s_branch .LBB14_21
.LBB14_19:                              ;   in Loop: Header=BB14_21 Depth=2
	v_mad_u64_u32 v[1:2], s[28:29], s10, v37, 0
	s_add_i32 s30, s41, 0xfffffe00
	s_cmp_lt_i32 s41, 1
	v_mad_u64_u32 v[2:3], s[28:29], s11, v37, v[2:3]
	v_mov_b32_e32 v3, s58
	s_cselect_b64 s[28:29], -1, 0
	v_lshlrev_b64 v[1:2], 4, v[1:2]
	s_andn2_b64 s[24:25], s[24:25], exec
	v_add_co_u32_e32 v5, vcc, s33, v1
	v_addc_co_u32_e32 v6, vcc, v3, v2, vcc
	flat_load_dwordx4 v[1:4], v[5:6]
	v_add_co_u32_e32 v17, vcc, s39, v17
	v_addc_co_u32_e32 v18, vcc, 0, v18, vcc
	v_add_co_u32_e32 v33, vcc, 0x200, v33
	s_and_b64 s[28:29], s[28:29], exec
	v_add_u32_e32 v36, 0xfffffe00, v36
	v_add_u32_e32 v35, 0xfffffe00, v35
	v_addc_co_u32_e32 v34, vcc, 0, v34, vcc
	s_or_b64 s[24:25], s[24:25], s[28:29]
	s_mov_b32 s41, s30
	s_waitcnt vmcnt(0) lgkmcnt(0)
	v_add_f64 v[1:2], v[1:2], -v[21:22]
	v_add_f64 v[3:4], v[3:4], -v[19:20]
	flat_store_dwordx4 v[5:6], v[1:4]
.LBB14_20:                              ;   in Loop: Header=BB14_21 Depth=2
	s_or_b64 exec, exec, s[26:27]
	s_and_b64 s[26:27], exec, s[24:25]
	s_or_b64 s[22:23], s[26:27], s[22:23]
	s_andn2_b64 exec, exec, s[22:23]
	s_cbranch_execz .LBB14_40
.LBB14_21:                              ;   Parent Loop BB14_5 Depth=1
                                        ; =>  This Loop Header: Depth=2
                                        ;       Child Loop BB14_24 Depth 3
	v_add_u32_e32 v37, s41, v0
	v_cmp_lt_i32_e32 vcc, -1, v37
	s_or_b64 s[24:25], s[24:25], exec
	s_and_saveexec_b64 s[26:27], vcc
	s_cbranch_execz .LBB14_20
; %bb.22:                               ;   in Loop: Header=BB14_21 Depth=2
	v_mad_u64_u32 v[1:2], s[28:29], v33, v35, 0
	v_mov_b32_e32 v19, 0
	v_mov_b32_e32 v21, 0
	v_mad_u64_u32 v[2:3], s[28:29], v34, v35, v[2:3]
	v_mov_b32_e32 v20, 0
	s_movk_i32 s42, 0x6000
	v_lshlrev_b64 v[1:2], 3, v[1:2]
	v_mov_b32_e32 v22, 0
	v_and_b32_e32 v1, -16, v1
	v_add_co_u32_e32 v23, vcc, v17, v1
	v_addc_co_u32_e32 v24, vcc, v18, v2, vcc
	s_movk_i32 s43, 0x200
	s_branch .LBB14_24
.LBB14_23:                              ;   in Loop: Header=BB14_24 Depth=3
	s_or_b64 exec, exec, s[28:29]
	s_waitcnt lgkmcnt(0)
	v_add_f64 v[3:4], v[19:20], v[3:4]
	v_add_f64 v[1:2], v[21:22], v[1:2]
	s_add_i32 s42, s42, 64
	s_add_i32 s43, s43, -4
	v_add_co_u32_e32 v23, vcc, 64, v23
	s_cmp_eq_u32 s43, 0
	v_addc_co_u32_e32 v24, vcc, 0, v24, vcc
	v_add_f64 v[3:4], v[3:4], v[7:8]
	v_add_f64 v[1:2], v[1:2], v[5:6]
	;; [unrolled: 1-line block ×6, first 2 shown]
	s_cbranch_scc1 .LBB14_19
.LBB14_24:                              ;   Parent Loop BB14_5 Depth=1
                                        ;     Parent Loop BB14_21 Depth=2
                                        ; =>    This Inner Loop Header: Depth=3
	v_add_u32_e32 v13, s43, v36
	v_cmp_ne_u32_e32 vcc, s35, v13
	s_xor_b64 s[28:29], s[12:13], -1
	s_or_b64 s[30:31], s[28:29], vcc
                                        ; implicit-def: $vgpr3_vgpr4
	s_and_saveexec_b64 s[44:45], s[30:31]
	s_xor_b64 s[30:31], exec, s[44:45]
	s_cbranch_execz .LBB14_26
; %bb.25:                               ;   in Loop: Header=BB14_24 Depth=3
	flat_load_dwordx4 v[3:6], v[23:24]
	v_mov_b32_e32 v1, s42
	ds_read_b128 v[7:10], v1
	s_waitcnt vmcnt(0) lgkmcnt(0)
	v_mul_f64 v[1:2], v[5:6], v[9:10]
	v_mul_f64 v[5:6], v[5:6], v[7:8]
	v_fma_f64 v[1:2], v[3:4], v[7:8], v[1:2]
	v_fma_f64 v[3:4], v[3:4], v[9:10], -v[5:6]
.LBB14_26:                              ;   in Loop: Header=BB14_24 Depth=3
	s_andn2_saveexec_b64 s[30:31], s[30:31]
; %bb.27:                               ;   in Loop: Header=BB14_24 Depth=3
	v_mov_b32_e32 v1, s42
	ds_read_b128 v[1:4], v1
; %bb.28:                               ;   in Loop: Header=BB14_24 Depth=3
	s_or_b64 exec, exec, s[30:31]
	v_cmp_ne_u32_e32 vcc, s36, v13
	s_or_b64 s[30:31], s[28:29], vcc
                                        ; implicit-def: $vgpr7_vgpr8
	s_and_saveexec_b64 s[44:45], s[30:31]
	s_xor_b64 s[30:31], exec, s[44:45]
	s_cbranch_execz .LBB14_30
; %bb.29:                               ;   in Loop: Header=BB14_24 Depth=3
	flat_load_dwordx4 v[7:10], v[23:24] offset:16
	v_mov_b32_e32 v5, s42
	ds_read_b128 v[38:41], v5 offset:16
	s_waitcnt vmcnt(0) lgkmcnt(0)
	v_mul_f64 v[5:6], v[9:10], v[40:41]
	v_mul_f64 v[9:10], v[9:10], v[38:39]
	v_fma_f64 v[5:6], v[7:8], v[38:39], v[5:6]
	v_fma_f64 v[7:8], v[7:8], v[40:41], -v[9:10]
.LBB14_30:                              ;   in Loop: Header=BB14_24 Depth=3
	s_andn2_saveexec_b64 s[30:31], s[30:31]
; %bb.31:                               ;   in Loop: Header=BB14_24 Depth=3
	v_mov_b32_e32 v5, s42
	ds_read_b128 v[5:8], v5 offset:16
; %bb.32:                               ;   in Loop: Header=BB14_24 Depth=3
	s_or_b64 exec, exec, s[30:31]
	v_cmp_ne_u32_e32 vcc, s37, v13
	s_or_b64 s[30:31], s[28:29], vcc
                                        ; implicit-def: $vgpr11_vgpr12
	s_and_saveexec_b64 s[44:45], s[30:31]
	s_xor_b64 s[30:31], exec, s[44:45]
	s_cbranch_execz .LBB14_34
; %bb.33:                               ;   in Loop: Header=BB14_24 Depth=3
	flat_load_dwordx4 v[38:41], v[23:24] offset:32
	v_mov_b32_e32 v9, s42
	ds_read_b128 v[9:12], v9 offset:32
	s_waitcnt vmcnt(0) lgkmcnt(0)
	v_mul_f64 v[14:15], v[40:41], v[11:12]
	v_mul_f64 v[40:41], v[40:41], v[9:10]
	v_fma_f64 v[9:10], v[38:39], v[9:10], v[14:15]
	v_fma_f64 v[11:12], v[38:39], v[11:12], -v[40:41]
.LBB14_34:                              ;   in Loop: Header=BB14_24 Depth=3
	s_andn2_saveexec_b64 s[30:31], s[30:31]
; %bb.35:                               ;   in Loop: Header=BB14_24 Depth=3
	v_mov_b32_e32 v9, s42
	ds_read_b128 v[9:12], v9 offset:32
; %bb.36:                               ;   in Loop: Header=BB14_24 Depth=3
	s_or_b64 exec, exec, s[30:31]
	v_cmp_ne_u32_e32 vcc, s38, v13
	s_or_b64 s[28:29], s[28:29], vcc
                                        ; implicit-def: $vgpr15_vgpr16
	s_and_saveexec_b64 s[30:31], s[28:29]
	s_xor_b64 s[28:29], exec, s[30:31]
	s_cbranch_execz .LBB14_38
; %bb.37:                               ;   in Loop: Header=BB14_24 Depth=3
	flat_load_dwordx4 v[38:41], v[23:24] offset:48
	v_mov_b32_e32 v13, s42
	ds_read_b128 v[13:16], v13 offset:48
	s_waitcnt vmcnt(0) lgkmcnt(0)
	v_mul_f64 v[42:43], v[40:41], v[15:16]
	v_mul_f64 v[40:41], v[40:41], v[13:14]
	v_fma_f64 v[13:14], v[38:39], v[13:14], v[42:43]
	v_fma_f64 v[15:16], v[38:39], v[15:16], -v[40:41]
.LBB14_38:                              ;   in Loop: Header=BB14_24 Depth=3
	s_andn2_saveexec_b64 s[28:29], s[28:29]
	s_cbranch_execz .LBB14_23
; %bb.39:                               ;   in Loop: Header=BB14_24 Depth=3
	v_mov_b32_e32 v13, s42
	ds_read_b128 v[13:16], v13 offset:48
	s_branch .LBB14_23
.LBB14_40:                              ;   in Loop: Header=BB14_5 Depth=1
	s_or_b64 exec, exec, s[22:23]
.LBB14_41:                              ;   in Loop: Header=BB14_5 Depth=1
	s_and_saveexec_b64 s[22:23], s[0:1]
	s_cbranch_execz .LBB14_4
; %bb.42:                               ;   in Loop: Header=BB14_5 Depth=1
	v_mad_u64_u32 v[5:6], s[0:1], s10, v32, 0
	v_mov_b32_e32 v1, v6
	v_mad_u64_u32 v[6:7], s[0:1], s11, v32, v[1:2]
	ds_read2_b64 v[1:4], v25 offset1:1
	v_mov_b32_e32 v7, s58
	v_lshlrev_b64 v[5:6], 4, v[5:6]
	v_add_co_u32_e32 v5, vcc, s33, v5
	v_addc_co_u32_e32 v6, vcc, v7, v6, vcc
	s_waitcnt lgkmcnt(0)
	flat_store_dwordx4 v[5:6], v[1:4]
	s_branch .LBB14_4
.LBB14_43:
	s_mov_b64 s[0:1], 0
.LBB14_44:
	s_andn2_b64 vcc, exec, s[0:1]
	s_cbranch_vccnz .LBB14_81
; %bb.45:
	s_andn2_b64 vcc, exec, s[8:9]
	s_cbranch_vccnz .LBB14_81
; %bb.46:
	v_mov_b32_e32 v1, 0x2000
	v_mov_b32_e32 v13, 0
	v_lshl_or_b32 v24, v0, 4, v1
	v_mov_b32_e32 v1, v13
	v_mad_u64_u32 v[14:15], s[0:1], v0, v0, v[0:1]
	v_lshlrev_b32_e32 v1, 10, v0
	v_add_co_u32_e32 v18, vcc, 0x40200, v1
	v_or_b32_e32 v12, 0x200, v0
	v_mov_b32_e32 v17, v13
	v_addc_co_u32_e64 v19, s[0:1], 0, 0, vcc
	s_mov_b32 s14, 0
	v_add_u32_e32 v25, 0x201, v0
	v_mov_b32_e32 v26, s7
	s_xor_b64 s[22:23], s[12:13], -1
	v_mov_b32_e32 v16, v12
	s_mov_b64 s[24:25], s[6:7]
	s_branch .LBB14_48
.LBB14_47:                              ;   in Loop: Header=BB14_48 Depth=1
	s_or_b64 exec, exec, s[4:5]
	v_add_co_u32_e32 v1, vcc, 0x80000, v18
	v_addc_co_u32_e32 v2, vcc, 0, v19, vcc
	v_add_co_u32_e32 v14, vcc, v14, v18
	v_addc_co_u32_e32 v15, vcc, v15, v19, vcc
	v_add_co_u32_e32 v16, vcc, 0x200, v16
	s_add_u32 s24, s24, 0x2000
	v_addc_co_u32_e32 v17, vcc, 0, v17, vcc
	v_mov_b32_e32 v19, v2
	s_addc_u32 s25, s25, 0
	v_add_u32_e32 v25, 0x200, v25
	s_and_b64 vcc, exec, s[2:3]
	v_mov_b32_e32 v18, v1
	s_mov_b32 s14, s34
	s_waitcnt vmcnt(0) lgkmcnt(0)
	s_barrier
	s_cbranch_vccnz .LBB14_81
.LBB14_48:                              ; =>This Loop Header: Depth=1
                                        ;     Child Loop BB14_52 Depth 2
                                        ;     Child Loop BB14_65 Depth 2
                                        ;       Child Loop BB14_68 Depth 3
	v_add_u32_e32 v27, s14, v0
	v_cmp_le_i32_e32 vcc, s15, v27
	v_cmp_gt_i32_e64 s[0:1], s15, v27
	s_and_saveexec_b64 s[4:5], s[0:1]
	s_cbranch_execz .LBB14_50
; %bb.49:                               ;   in Loop: Header=BB14_48 Depth=1
	v_mad_u64_u32 v[1:2], s[2:3], s10, v27, 0
	v_mad_u64_u32 v[2:3], s[2:3], s11, v27, v[2:3]
	v_mov_b32_e32 v3, s58
	v_lshlrev_b64 v[1:2], 4, v[1:2]
	v_add_co_u32_e64 v1, s[2:3], s33, v1
	v_addc_co_u32_e64 v2, s[2:3], v3, v2, s[2:3]
	flat_load_dwordx4 v[1:4], v[1:2]
	s_waitcnt vmcnt(0) lgkmcnt(0)
	ds_write2_b64 v24, v[1:2], v[3:4] offset1:1
.LBB14_50:                              ;   in Loop: Header=BB14_48 Depth=1
	s_or_b64 exec, exec, s[4:5]
	v_lshlrev_b64 v[1:2], 3, v[14:15]
	v_or_b32_e32 v12, s14, v0
	v_and_b32_e32 v1, -16, v1
	v_mov_b32_e32 v3, s25
	v_add_co_u32_e64 v20, s[2:3], s24, v1
	v_add_u32_e32 v1, 1, v12
	v_addc_co_u32_e64 v21, s[2:3], v3, v2, s[2:3]
	v_mad_u64_u32 v[1:2], s[2:3], v1, v12, 0
	v_cmp_le_i32_e64 s[2:3], s15, v12
	s_mov_b32 s30, 0
	v_lshlrev_b64 v[1:2], 3, v[1:2]
	s_movk_i32 s31, 0x2000
	v_and_b32_e32 v1, -16, v1
	v_add_co_u32_e64 v3, s[4:5], s6, v1
	v_addc_co_u32_e64 v4, s[4:5], v26, v2, s[4:5]
	v_lshlrev_b64 v[1:2], 4, v[12:13]
	s_waitcnt lgkmcnt(0)
	v_add_co_u32_e64 v22, s[4:5], v3, v1
	v_addc_co_u32_e64 v23, s[4:5], v4, v2, s[4:5]
	s_xor_b64 s[4:5], vcc, -1
	s_barrier
	s_branch .LBB14_52
.LBB14_51:                              ;   in Loop: Header=BB14_52 Depth=2
	s_or_b64 exec, exec, s[26:27]
	s_add_i32 s30, s30, 1
	s_add_i32 s31, s31, 16
	v_add_co_u32_e32 v20, vcc, 16, v20
	s_cmpk_eq_i32 s30, 0x200
	v_addc_co_u32_e32 v21, vcc, 0, v21, vcc
	s_cbranch_scc1 .LBB14_61
.LBB14_52:                              ;   Parent Loop BB14_48 Depth=1
                                        ; =>  This Inner Loop Header: Depth=2
	v_cmp_ne_u32_e32 vcc, s30, v0
	s_or_b64 s[26:27], s[12:13], vcc
	s_nor_b64 s[28:29], s[26:27], s[2:3]
	s_and_saveexec_b64 s[26:27], s[28:29]
	s_cbranch_execz .LBB14_58
; %bb.53:                               ;   in Loop: Header=BB14_52 Depth=2
	flat_load_dwordx4 v[5:8], v[22:23]
	ds_read_b128 v[1:4], v24
                                        ; implicit-def: $vgpr9_vgpr10
	s_waitcnt vmcnt(0) lgkmcnt(0)
	v_cmp_ngt_f64_e64 s[28:29], |v[5:6]|, |v[7:8]|
	s_and_saveexec_b64 s[34:35], s[28:29]
	s_xor_b64 s[28:29], exec, s[34:35]
	s_cbranch_execz .LBB14_55
; %bb.54:                               ;   in Loop: Header=BB14_52 Depth=2
	v_div_scale_f64 v[9:10], s[34:35], -v[7:8], -v[7:8], v[5:6]
	v_rcp_f64_e32 v[11:12], v[9:10]
	v_fma_f64 v[28:29], -v[9:10], v[11:12], 1.0
	v_fma_f64 v[11:12], v[11:12], v[28:29], v[11:12]
	v_div_scale_f64 v[28:29], vcc, v[5:6], -v[7:8], v[5:6]
	v_fma_f64 v[30:31], -v[9:10], v[11:12], 1.0
	v_fma_f64 v[11:12], v[11:12], v[30:31], v[11:12]
	v_mul_f64 v[30:31], v[28:29], v[11:12]
	v_fma_f64 v[9:10], -v[9:10], v[30:31], v[28:29]
	v_div_fmas_f64 v[9:10], v[9:10], v[11:12], v[30:31]
	v_div_fixup_f64 v[9:10], v[9:10], -v[7:8], v[5:6]
	v_fma_f64 v[5:6], v[5:6], v[9:10], -v[7:8]
	v_div_scale_f64 v[7:8], s[34:35], v[5:6], v[5:6], 1.0
	v_rcp_f64_e32 v[11:12], v[7:8]
	v_fma_f64 v[28:29], -v[7:8], v[11:12], 1.0
	v_fma_f64 v[11:12], v[11:12], v[28:29], v[11:12]
	v_div_scale_f64 v[28:29], vcc, 1.0, v[5:6], 1.0
	v_fma_f64 v[30:31], -v[7:8], v[11:12], 1.0
	v_fma_f64 v[11:12], v[11:12], v[30:31], v[11:12]
	v_mul_f64 v[30:31], v[28:29], v[11:12]
	v_fma_f64 v[7:8], -v[7:8], v[30:31], v[28:29]
	v_div_fmas_f64 v[7:8], v[7:8], v[11:12], v[30:31]
	v_fma_f64 v[11:12], v[9:10], v[1:2], v[3:4]
	v_fma_f64 v[1:2], v[9:10], v[3:4], -v[1:2]
	v_div_fixup_f64 v[5:6], v[7:8], v[5:6], 1.0
	v_mul_f64 v[9:10], v[11:12], v[5:6]
	v_mul_f64 v[11:12], v[5:6], v[1:2]
                                        ; implicit-def: $vgpr5_vgpr6
                                        ; implicit-def: $vgpr3_vgpr4
.LBB14_55:                              ;   in Loop: Header=BB14_52 Depth=2
	s_andn2_saveexec_b64 s[28:29], s[28:29]
	s_cbranch_execz .LBB14_57
; %bb.56:                               ;   in Loop: Header=BB14_52 Depth=2
	v_div_scale_f64 v[9:10], s[34:35], v[5:6], v[5:6], -v[7:8]
	v_rcp_f64_e32 v[11:12], v[9:10]
	v_fma_f64 v[28:29], -v[9:10], v[11:12], 1.0
	v_fma_f64 v[11:12], v[11:12], v[28:29], v[11:12]
	v_div_scale_f64 v[28:29], vcc, -v[7:8], v[5:6], -v[7:8]
	v_fma_f64 v[30:31], -v[9:10], v[11:12], 1.0
	v_fma_f64 v[11:12], v[11:12], v[30:31], v[11:12]
	v_mul_f64 v[30:31], v[28:29], v[11:12]
	v_fma_f64 v[9:10], -v[9:10], v[30:31], v[28:29]
	v_div_fmas_f64 v[9:10], v[9:10], v[11:12], v[30:31]
	v_div_fixup_f64 v[9:10], v[9:10], v[5:6], -v[7:8]
	v_fma_f64 v[5:6], -v[7:8], v[9:10], v[5:6]
	v_div_scale_f64 v[7:8], s[34:35], v[5:6], v[5:6], 1.0
	v_rcp_f64_e32 v[11:12], v[7:8]
	v_fma_f64 v[28:29], -v[7:8], v[11:12], 1.0
	v_fma_f64 v[11:12], v[11:12], v[28:29], v[11:12]
	v_div_scale_f64 v[28:29], vcc, 1.0, v[5:6], 1.0
	v_fma_f64 v[30:31], -v[7:8], v[11:12], 1.0
	v_fma_f64 v[11:12], v[11:12], v[30:31], v[11:12]
	v_mul_f64 v[30:31], v[28:29], v[11:12]
	v_fma_f64 v[7:8], -v[7:8], v[30:31], v[28:29]
	v_div_fmas_f64 v[7:8], v[7:8], v[11:12], v[30:31]
	v_fma_f64 v[11:12], v[9:10], v[3:4], v[1:2]
	v_fma_f64 v[1:2], -v[9:10], v[1:2], v[3:4]
	v_div_fixup_f64 v[5:6], v[7:8], v[5:6], 1.0
	v_mul_f64 v[9:10], v[5:6], v[11:12]
	v_mul_f64 v[11:12], v[1:2], v[5:6]
.LBB14_57:                              ;   in Loop: Header=BB14_52 Depth=2
	s_or_b64 exec, exec, s[28:29]
	ds_write_b128 v24, v[9:12]
.LBB14_58:                              ;   in Loop: Header=BB14_52 Depth=2
	s_or_b64 exec, exec, s[26:27]
	v_cmp_lt_u32_e32 vcc, s30, v0
	s_waitcnt lgkmcnt(0)
	s_barrier
	s_and_saveexec_b64 s[26:27], vcc
	s_cbranch_execz .LBB14_51
; %bb.59:                               ;   in Loop: Header=BB14_52 Depth=2
	s_add_i32 s28, s14, s30
	s_cmp_lt_i32 s28, s15
	s_cselect_b64 s[28:29], -1, 0
	s_and_b64 s[28:29], s[4:5], s[28:29]
	s_and_b64 exec, exec, s[28:29]
	s_cbranch_execz .LBB14_51
; %bb.60:                               ;   in Loop: Header=BB14_52 Depth=2
	flat_load_dwordx4 v[1:4], v[20:21]
	v_mov_b32_e32 v5, s31
	ds_read_b128 v[5:8], v5
	s_waitcnt vmcnt(0) lgkmcnt(0)
	v_mul_f64 v[9:10], v[3:4], v[7:8]
	v_mul_f64 v[3:4], v[3:4], v[5:6]
	v_fma_f64 v[5:6], v[1:2], v[5:6], v[9:10]
	v_fma_f64 v[7:8], v[1:2], v[7:8], -v[3:4]
	ds_read_b128 v[1:4], v24
	s_waitcnt lgkmcnt(0)
	v_add_f64 v[1:2], v[1:2], -v[5:6]
	v_add_f64 v[3:4], v[3:4], -v[7:8]
	ds_write_b128 v24, v[1:4]
	s_branch .LBB14_51
.LBB14_61:                              ;   in Loop: Header=BB14_48 Depth=1
	s_add_i32 s34, s14, 0x200
	s_cmp_ge_i32 s34, s15
	s_cselect_b64 s[2:3], -1, 0
	s_and_b64 vcc, exec, s[2:3]
	s_waitcnt lgkmcnt(0)
	s_barrier
	s_cbranch_vccnz .LBB14_79
; %bb.62:                               ;   in Loop: Header=BB14_48 Depth=1
	v_mov_b32_e32 v1, v16
	s_mov_b64 s[4:5], 0
	v_mov_b32_e32 v9, v25
	v_mov_b32_e32 v2, v17
	;; [unrolled: 1-line block ×3, first 2 shown]
	s_mov_b32 s35, s34
                                        ; implicit-def: $sgpr26_sgpr27
	s_branch .LBB14_65
.LBB14_63:                              ;   in Loop: Header=BB14_65 Depth=2
	v_mad_u64_u32 v[7:8], s[30:31], s10, v11, 0
	s_addk_i32 s35, 0x200
	s_cmp_ge_i32 s35, s15
	v_mad_u64_u32 v[11:12], s[30:31], s11, v11, v[8:9]
	v_mov_b32_e32 v12, s58
	s_cselect_b64 s[30:31], -1, 0
	v_mov_b32_e32 v8, v11
	v_lshlrev_b64 v[7:8], 4, v[7:8]
	s_andn2_b64 s[26:27], s[26:27], exec
	v_add_co_u32_e32 v11, vcc, s33, v7
	v_addc_co_u32_e32 v12, vcc, v12, v8, vcc
	flat_load_dwordx4 v[20:23], v[11:12]
	v_add_co_u32_e32 v1, vcc, 0x200, v1
	s_and_b64 s[30:31], s[30:31], exec
	v_add_u32_e32 v9, 0x200, v9
	v_addc_co_u32_e32 v2, vcc, 0, v2, vcc
	s_or_b64 s[26:27], s[26:27], s[30:31]
	s_waitcnt vmcnt(0) lgkmcnt(0)
	v_add_f64 v[5:6], v[20:21], -v[5:6]
	v_add_f64 v[7:8], v[22:23], -v[3:4]
	flat_store_dwordx4 v[11:12], v[5:8]
.LBB14_64:                              ;   in Loop: Header=BB14_65 Depth=2
	s_or_b64 exec, exec, s[28:29]
	s_and_b64 s[28:29], exec, s[26:27]
	s_or_b64 s[4:5], s[28:29], s[4:5]
	s_andn2_b64 exec, exec, s[4:5]
	s_cbranch_execz .LBB14_78
.LBB14_65:                              ;   Parent Loop BB14_48 Depth=1
                                        ; =>  This Loop Header: Depth=2
                                        ;       Child Loop BB14_68 Depth 3
	v_add_u32_e32 v11, s35, v0
	v_cmp_gt_i32_e32 vcc, s15, v11
	s_or_b64 s[26:27], s[26:27], exec
	s_and_saveexec_b64 s[28:29], vcc
	s_cbranch_execz .LBB14_64
; %bb.66:                               ;   in Loop: Header=BB14_65 Depth=2
	v_mad_u64_u32 v[3:4], s[30:31], v1, v9, 0
	v_add_u32_e32 v12, 0x1ff, v10
	v_add_u32_e32 v10, 0x200, v10
	v_mad_u64_u32 v[4:5], s[30:31], v2, v9, v[4:5]
	v_mov_b32_e32 v5, s25
	s_mov_b32 s36, 0
	v_lshlrev_b64 v[3:4], 3, v[3:4]
	s_movk_i32 s37, 0x2000
	v_and_b32_e32 v3, -16, v3
	v_add_co_u32_e32 v7, vcc, s24, v3
	v_addc_co_u32_e32 v8, vcc, v5, v4, vcc
	v_mov_b32_e32 v3, 0
	v_mov_b32_e32 v5, 0
	;; [unrolled: 1-line block ×4, first 2 shown]
	s_branch .LBB14_68
.LBB14_67:                              ;   in Loop: Header=BB14_68 Depth=3
	s_or_b64 exec, exec, s[30:31]
	s_add_i32 s36, s36, 2
	s_add_i32 s37, s37, 32
	v_add_co_u32_e32 v7, vcc, 32, v7
	s_cmpk_eq_i32 s36, 0x200
	v_addc_co_u32_e32 v8, vcc, 0, v8, vcc
	s_cbranch_scc1 .LBB14_63
.LBB14_68:                              ;   Parent Loop BB14_48 Depth=1
                                        ;     Parent Loop BB14_65 Depth=2
                                        ; =>    This Inner Loop Header: Depth=3
	v_cmp_ne_u32_e32 vcc, s36, v10
	s_add_i32 s38, s14, s36
	s_or_b64 s[30:31], s[22:23], vcc
	s_and_saveexec_b64 s[40:41], s[30:31]
	s_xor_b64 s[30:31], exec, s[40:41]
	s_cbranch_execz .LBB14_71
; %bb.69:                               ;   in Loop: Header=BB14_68 Depth=3
	s_cmp_ge_i32 s38, s15
	s_cbranch_scc1 .LBB14_71
; %bb.70:                               ;   in Loop: Header=BB14_68 Depth=3
	flat_load_dwordx4 v[20:23], v[7:8]
	v_mov_b32_e32 v28, s37
	ds_read_b128 v[28:31], v28
	s_waitcnt vmcnt(0) lgkmcnt(0)
	v_mul_f64 v[32:33], v[22:23], v[30:31]
	v_mul_f64 v[22:23], v[22:23], v[28:29]
	v_fma_f64 v[28:29], v[20:21], v[28:29], v[32:33]
	v_fma_f64 v[20:21], v[20:21], v[30:31], -v[22:23]
	v_add_f64 v[5:6], v[5:6], v[28:29]
	v_add_f64 v[3:4], v[3:4], v[20:21]
.LBB14_71:                              ;   in Loop: Header=BB14_68 Depth=3
	s_andn2_saveexec_b64 s[30:31], s[30:31]
	s_cbranch_execz .LBB14_73
; %bb.72:                               ;   in Loop: Header=BB14_68 Depth=3
	v_mov_b32_e32 v20, s37
	ds_read_b128 v[20:23], v20
	s_waitcnt lgkmcnt(0)
	v_add_f64 v[5:6], v[5:6], v[20:21]
	v_add_f64 v[3:4], v[3:4], v[22:23]
.LBB14_73:                              ;   in Loop: Header=BB14_68 Depth=3
	s_or_b64 exec, exec, s[30:31]
	v_cmp_ne_u32_e32 vcc, s36, v12
	s_or_b64 s[30:31], s[22:23], vcc
	s_and_saveexec_b64 s[40:41], s[30:31]
	s_xor_b64 s[30:31], exec, s[40:41]
	s_cbranch_execz .LBB14_76
; %bb.74:                               ;   in Loop: Header=BB14_68 Depth=3
	s_add_i32 s38, s38, 1
	s_cmp_ge_i32 s38, s15
	s_cbranch_scc1 .LBB14_76
; %bb.75:                               ;   in Loop: Header=BB14_68 Depth=3
	flat_load_dwordx4 v[20:23], v[7:8] offset:16
	v_mov_b32_e32 v28, s37
	ds_read_b128 v[28:31], v28 offset:16
	s_waitcnt vmcnt(0) lgkmcnt(0)
	v_mul_f64 v[32:33], v[22:23], v[30:31]
	v_mul_f64 v[22:23], v[22:23], v[28:29]
	v_fma_f64 v[28:29], v[20:21], v[28:29], v[32:33]
	v_fma_f64 v[20:21], v[20:21], v[30:31], -v[22:23]
	v_add_f64 v[5:6], v[5:6], v[28:29]
	v_add_f64 v[3:4], v[3:4], v[20:21]
.LBB14_76:                              ;   in Loop: Header=BB14_68 Depth=3
	s_andn2_saveexec_b64 s[30:31], s[30:31]
	s_cbranch_execz .LBB14_67
; %bb.77:                               ;   in Loop: Header=BB14_68 Depth=3
	v_mov_b32_e32 v20, s37
	ds_read_b128 v[20:23], v20 offset:16
	s_waitcnt lgkmcnt(0)
	v_add_f64 v[5:6], v[5:6], v[20:21]
	v_add_f64 v[3:4], v[3:4], v[22:23]
	s_branch .LBB14_67
.LBB14_78:                              ;   in Loop: Header=BB14_48 Depth=1
	s_or_b64 exec, exec, s[4:5]
.LBB14_79:                              ;   in Loop: Header=BB14_48 Depth=1
	s_and_saveexec_b64 s[4:5], s[0:1]
	s_cbranch_execz .LBB14_47
; %bb.80:                               ;   in Loop: Header=BB14_48 Depth=1
	v_mad_u64_u32 v[5:6], s[0:1], s10, v27, 0
	v_mov_b32_e32 v1, v6
	v_mad_u64_u32 v[6:7], s[0:1], s11, v27, v[1:2]
	ds_read2_b64 v[1:4], v24 offset1:1
	v_mov_b32_e32 v7, s58
	v_lshlrev_b64 v[5:6], 4, v[5:6]
	v_add_co_u32_e32 v5, vcc, s33, v5
	v_addc_co_u32_e32 v6, vcc, v7, v6, vcc
	s_waitcnt lgkmcnt(0)
	flat_store_dwordx4 v[5:6], v[1:4]
	s_branch .LBB14_47
.LBB14_81:
	s_mov_b64 s[0:1], 0
.LBB14_82:
	s_andn2_b64 vcc, exec, s[0:1]
	s_cbranch_vccnz .LBB14_156
; %bb.83:
	s_mov_b64 s[0:1], -1
	s_and_b64 vcc, exec, s[20:21]
	s_cbranch_vccz .LBB14_122
; %bb.84:
	s_andn2_b64 vcc, exec, s[8:9]
	s_cbranch_vccnz .LBB14_121
; %bb.85:
	s_lshl_b32 s20, s15, 1
	s_or_b32 s14, s20, 1
	s_ashr_i32 s21, s20, 31
	s_add_u32 s59, s16, s18
	s_addc_u32 s60, s17, s19
	s_lshl_b64 s[0:1], s[20:21], 9
	s_add_u32 s34, s0, 0xfffc0200
	s_addc_u32 s35, s1, -1
	s_add_u32 s28, s0, 0xfffbfe00
	s_addc_u32 s29, s1, -1
	s_lshl_b64 s[0:1], s[20:21], 1
	s_add_u32 s16, s0, -6
	v_lshlrev_b32_e32 v20, 4, v0
	s_addc_u32 s17, s1, -1
	v_mov_b32_e32 v2, s60
	v_add_co_u32_e32 v14, vcc, s59, v20
	s_add_u32 s18, s0, -2
	v_mov_b32_e32 v1, 0
	v_addc_co_u32_e32 v15, vcc, 0, v2, vcc
	v_or_b32_e32 v21, 0x200, v0
	s_addc_u32 s19, s1, -1
	s_mov_b64 s[22:23], -1
	s_mov_b64 s[24:25], 0
	v_mov_b32_e32 v22, s7
	s_mov_b64 s[26:27], 0
	s_mov_b64 s[30:31], s[20:21]
	;; [unrolled: 1-line block ×3, first 2 shown]
	s_branch .LBB14_87
.LBB14_86:                              ;   in Loop: Header=BB14_87 Depth=1
	s_or_b64 exec, exec, s[36:37]
	s_add_u32 s0, s34, 0xfff80000
	s_addc_u32 s1, s35, -1
	s_add_u32 s24, s24, s34
	s_addc_u32 s25, s25, s35
	s_add_u32 s30, s30, 0xfffffc00
	s_addc_u32 s31, s31, -1
	s_add_u32 s22, s22, 0xfffffe00
	s_addc_u32 s23, s23, -1
	;; [unrolled: 2-line block ×3, first 2 shown]
	s_add_u32 s20, s20, s28
	s_addc_u32 s21, s21, s29
	s_add_u32 s16, s16, 0xfffff800
	s_addc_u32 s17, s17, -1
	s_add_u32 s26, s26, 0xfffffe00
	s_addc_u32 s27, s27, -1
	s_add_u32 s18, s18, 0xfffff800
	v_add_u32_e32 v21, 0x200, v21
	s_addc_u32 s19, s19, -1
	s_and_b64 vcc, exec, s[4:5]
	s_mov_b64 s[28:29], s[34:35]
	s_mov_b64 s[34:35], s[0:1]
	;; [unrolled: 1-line block ×3, first 2 shown]
	s_waitcnt vmcnt(0) lgkmcnt(0)
	s_barrier
	s_cbranch_vccnz .LBB14_121
.LBB14_87:                              ; =>This Loop Header: Depth=1
                                        ;     Child Loop BB14_91 Depth 2
                                        ;     Child Loop BB14_104 Depth 2
                                        ;       Child Loop BB14_106 Depth 3
	v_add_u32_e32 v23, s36, v0
	v_cmp_le_i32_e32 vcc, s15, v23
	v_cmp_gt_i32_e64 s[0:1], s15, v23
	s_and_saveexec_b64 s[4:5], s[0:1]
	s_cbranch_execz .LBB14_89
; %bb.88:                               ;   in Loop: Header=BB14_87 Depth=1
	v_mad_u64_u32 v[2:3], s[2:3], s10, v23, 0
	v_mad_u64_u32 v[3:4], s[2:3], s11, v23, v[3:4]
	v_mov_b32_e32 v4, s58
	v_lshlrev_b64 v[2:3], 4, v[2:3]
	v_add_co_u32_e64 v2, s[2:3], s33, v2
	v_addc_co_u32_e64 v3, s[2:3], v4, v3, s[2:3]
	flat_load_dwordx4 v[2:5], v[2:3]
	s_waitcnt vmcnt(0) lgkmcnt(0)
	ds_write2_b64 v20, v[2:3], v[4:5] offset1:1
.LBB14_89:                              ;   in Loop: Header=BB14_87 Depth=1
	s_or_b64 exec, exec, s[4:5]
	v_or_b32_e32 v5, s36, v0
	v_sub_u32_e32 v4, s14, v5
	v_mad_u64_u32 v[2:3], s[2:3], v4, v5, 0
	v_ashrrev_i32_e32 v4, 31, v4
	v_mov_b32_e32 v19, v15
	v_mad_u64_u32 v[3:4], s[2:3], v4, v5, v[3:4]
	v_cmp_le_i32_e64 s[2:3], s15, v5
	s_mov_b32 s48, 0
	v_lshlrev_b64 v[2:3], 3, v[2:3]
	s_xor_b64 s[38:39], vcc, -1
	v_and_b32_e32 v2, -16, v2
	v_add_co_u32_e64 v16, s[4:5], s6, v2
	v_addc_co_u32_e64 v17, s[4:5], v22, v3, s[4:5]
	s_mov_b64 s[4:5], 0
	s_mov_b64 s[40:41], s[24:25]
	;; [unrolled: 1-line block ×3, first 2 shown]
	v_mov_b32_e32 v18, v14
	s_waitcnt lgkmcnt(0)
	s_barrier
	s_branch .LBB14_91
.LBB14_90:                              ;   in Loop: Header=BB14_91 Depth=2
	s_or_b64 exec, exec, s[44:45]
	s_add_u32 s4, s4, 1
	s_addc_u32 s5, s5, 0
	s_add_u32 s44, s42, -2
	s_addc_u32 s45, s43, -1
	s_add_u32 s40, s40, s42
	v_add_co_u32_e32 v18, vcc, -16, v18
	s_addc_u32 s41, s41, s43
	s_add_i32 s48, s48, 16
	v_addc_co_u32_e32 v19, vcc, -1, v19, vcc
	s_cmpk_eq_i32 s4, 0x200
	s_mov_b64 s[42:43], s[44:45]
	s_cbranch_scc1 .LBB14_100
.LBB14_91:                              ;   Parent Loop BB14_87 Depth=1
                                        ; =>  This Inner Loop Header: Depth=2
	v_cmp_ne_u32_e32 vcc, s4, v0
	s_or_b64 s[44:45], s[12:13], vcc
	s_nor_b64 s[46:47], s[44:45], s[2:3]
	s_and_saveexec_b64 s[44:45], s[46:47]
	s_cbranch_execz .LBB14_97
; %bb.92:                               ;   in Loop: Header=BB14_91 Depth=2
	flat_load_dwordx4 v[6:9], v[16:17]
	ds_read_b128 v[2:5], v20
                                        ; implicit-def: $vgpr10_vgpr11
	s_waitcnt vmcnt(0) lgkmcnt(0)
	v_cmp_ngt_f64_e64 s[46:47], |v[6:7]|, |v[8:9]|
	s_and_saveexec_b64 s[50:51], s[46:47]
	s_xor_b64 s[46:47], exec, s[50:51]
	s_cbranch_execz .LBB14_94
; %bb.93:                               ;   in Loop: Header=BB14_91 Depth=2
	v_div_scale_f64 v[10:11], s[50:51], v[8:9], v[8:9], v[6:7]
	v_rcp_f64_e32 v[12:13], v[10:11]
	v_fma_f64 v[24:25], -v[10:11], v[12:13], 1.0
	v_fma_f64 v[12:13], v[12:13], v[24:25], v[12:13]
	v_div_scale_f64 v[24:25], vcc, v[6:7], v[8:9], v[6:7]
	v_fma_f64 v[26:27], -v[10:11], v[12:13], 1.0
	v_fma_f64 v[12:13], v[12:13], v[26:27], v[12:13]
	v_mul_f64 v[26:27], v[24:25], v[12:13]
	v_fma_f64 v[10:11], -v[10:11], v[26:27], v[24:25]
	v_div_fmas_f64 v[10:11], v[10:11], v[12:13], v[26:27]
	v_div_fixup_f64 v[10:11], v[10:11], v[8:9], v[6:7]
	v_fma_f64 v[6:7], v[6:7], v[10:11], v[8:9]
	v_div_scale_f64 v[8:9], s[50:51], v[6:7], v[6:7], 1.0
	v_rcp_f64_e32 v[12:13], v[8:9]
	v_fma_f64 v[24:25], -v[8:9], v[12:13], 1.0
	v_fma_f64 v[12:13], v[12:13], v[24:25], v[12:13]
	v_div_scale_f64 v[24:25], vcc, 1.0, v[6:7], 1.0
	v_fma_f64 v[26:27], -v[8:9], v[12:13], 1.0
	v_fma_f64 v[12:13], v[12:13], v[26:27], v[12:13]
	v_mul_f64 v[26:27], v[24:25], v[12:13]
	v_fma_f64 v[8:9], -v[8:9], v[26:27], v[24:25]
	v_div_fmas_f64 v[8:9], v[8:9], v[12:13], v[26:27]
	v_fma_f64 v[12:13], v[10:11], v[2:3], v[4:5]
	v_fma_f64 v[2:3], v[10:11], v[4:5], -v[2:3]
	v_div_fixup_f64 v[6:7], v[8:9], v[6:7], 1.0
	v_mul_f64 v[10:11], v[12:13], v[6:7]
	v_mul_f64 v[12:13], v[6:7], v[2:3]
                                        ; implicit-def: $vgpr6_vgpr7
                                        ; implicit-def: $vgpr4_vgpr5
.LBB14_94:                              ;   in Loop: Header=BB14_91 Depth=2
	s_andn2_saveexec_b64 s[46:47], s[46:47]
	s_cbranch_execz .LBB14_96
; %bb.95:                               ;   in Loop: Header=BB14_91 Depth=2
	v_div_scale_f64 v[10:11], s[50:51], v[6:7], v[6:7], v[8:9]
	v_rcp_f64_e32 v[12:13], v[10:11]
	v_fma_f64 v[24:25], -v[10:11], v[12:13], 1.0
	v_fma_f64 v[12:13], v[12:13], v[24:25], v[12:13]
	v_div_scale_f64 v[24:25], vcc, v[8:9], v[6:7], v[8:9]
	v_fma_f64 v[26:27], -v[10:11], v[12:13], 1.0
	v_fma_f64 v[12:13], v[12:13], v[26:27], v[12:13]
	v_mul_f64 v[26:27], v[24:25], v[12:13]
	v_fma_f64 v[10:11], -v[10:11], v[26:27], v[24:25]
	v_div_fmas_f64 v[10:11], v[10:11], v[12:13], v[26:27]
	v_div_fixup_f64 v[10:11], v[10:11], v[6:7], v[8:9]
	v_fma_f64 v[6:7], v[8:9], v[10:11], v[6:7]
	v_div_scale_f64 v[8:9], s[50:51], v[6:7], v[6:7], 1.0
	v_rcp_f64_e32 v[12:13], v[8:9]
	v_fma_f64 v[24:25], -v[8:9], v[12:13], 1.0
	v_fma_f64 v[12:13], v[12:13], v[24:25], v[12:13]
	v_div_scale_f64 v[24:25], vcc, 1.0, v[6:7], 1.0
	v_fma_f64 v[26:27], -v[8:9], v[12:13], 1.0
	v_fma_f64 v[12:13], v[12:13], v[26:27], v[12:13]
	v_mul_f64 v[26:27], v[24:25], v[12:13]
	v_fma_f64 v[8:9], -v[8:9], v[26:27], v[24:25]
	v_div_fmas_f64 v[8:9], v[8:9], v[12:13], v[26:27]
	v_fma_f64 v[12:13], v[10:11], v[4:5], v[2:3]
	v_fma_f64 v[2:3], -v[10:11], v[2:3], v[4:5]
	v_div_fixup_f64 v[6:7], v[8:9], v[6:7], 1.0
	v_mul_f64 v[10:11], v[6:7], v[12:13]
	v_mul_f64 v[12:13], v[2:3], v[6:7]
.LBB14_96:                              ;   in Loop: Header=BB14_91 Depth=2
	s_or_b64 exec, exec, s[46:47]
	ds_write_b128 v20, v[10:13]
.LBB14_97:                              ;   in Loop: Header=BB14_91 Depth=2
	s_or_b64 exec, exec, s[44:45]
	v_cmp_lt_u32_e32 vcc, s4, v0
	s_waitcnt lgkmcnt(0)
	s_barrier
	s_and_saveexec_b64 s[44:45], vcc
	s_cbranch_execz .LBB14_90
; %bb.98:                               ;   in Loop: Header=BB14_91 Depth=2
	s_add_i32 s46, s36, s4
	s_cmp_lt_i32 s46, s15
	s_cselect_b64 s[46:47], -1, 0
	s_and_b64 s[46:47], s[38:39], s[46:47]
	s_and_b64 exec, exec, s[46:47]
	s_cbranch_execz .LBB14_90
; %bb.99:                               ;   in Loop: Header=BB14_91 Depth=2
	s_lshl_b64 s[46:47], s[40:41], 3
	s_and_b32 s46, s46, -16
	v_mov_b32_e32 v3, s47
	v_add_co_u32_e32 v2, vcc, s46, v18
	v_addc_co_u32_e32 v3, vcc, v19, v3, vcc
	flat_load_dwordx4 v[2:5], v[2:3]
	v_mov_b32_e32 v6, s48
	ds_read_b128 v[6:9], v6
	s_waitcnt vmcnt(0) lgkmcnt(0)
	v_mul_f64 v[10:11], v[4:5], v[8:9]
	v_mul_f64 v[8:9], v[2:3], v[8:9]
	v_fma_f64 v[10:11], v[2:3], v[6:7], -v[10:11]
	v_fma_f64 v[6:7], v[4:5], v[6:7], v[8:9]
	ds_read_b128 v[2:5], v20
	s_waitcnt lgkmcnt(0)
	v_add_f64 v[2:3], v[2:3], -v[10:11]
	v_add_f64 v[4:5], v[4:5], -v[6:7]
	ds_write_b128 v20, v[2:5]
	s_branch .LBB14_90
.LBB14_100:                             ;   in Loop: Header=BB14_87 Depth=1
	s_add_u32 s2, s36, 0x200
	s_addc_u32 s3, s37, 0
	s_cmp_ge_i32 s2, s15
	s_cselect_b64 s[4:5], -1, 0
	s_and_b64 vcc, exec, s[4:5]
	s_waitcnt lgkmcnt(0)
	s_barrier
	s_cbranch_vccnz .LBB14_119
; %bb.101:                              ;   in Loop: Header=BB14_87 Depth=1
	v_ashrrev_i32_e32 v5, 31, v21
	v_mov_b32_e32 v3, s23
	v_add_co_u32_e32 v2, vcc, s22, v21
	v_addc_co_u32_e32 v3, vcc, v3, v5, vcc
	v_lshlrev_b64 v[2:3], 4, v[2:3]
	v_mov_b32_e32 v6, s60
	v_add_co_u32_e32 v2, vcc, s59, v2
	v_addc_co_u32_e32 v3, vcc, v6, v3, vcc
	v_mov_b32_e32 v7, s27
	v_add_co_u32_e32 v4, vcc, s26, v21
	v_addc_co_u32_e32 v5, vcc, v7, v5, vcc
	v_lshlrev_b64 v[4:5], 4, v[4:5]
	s_mov_b32 s37, s2
	v_add_co_u32_e32 v4, vcc, s59, v4
	v_addc_co_u32_e32 v5, vcc, v6, v5, vcc
	v_mov_b32_e32 v7, v1
	s_mov_b64 s[38:39], 0
	v_mov_b32_e32 v6, v0
                                        ; implicit-def: $sgpr40_sgpr41
	s_branch .LBB14_104
.LBB14_102:                             ;   in Loop: Header=BB14_104 Depth=2
	v_mad_u64_u32 v[12:13], s[44:45], s10, v18, 0
	s_addk_i32 s37, 0x200
	s_cmp_ge_i32 s37, s15
	v_mad_u64_u32 v[16:17], s[44:45], s11, v18, v[13:14]
	v_mov_b32_e32 v17, s58
	s_cselect_b64 s[44:45], -1, 0
	v_mov_b32_e32 v13, v16
	v_lshlrev_b64 v[12:13], 4, v[12:13]
	s_andn2_b64 s[40:41], s[40:41], exec
	v_add_co_u32_e32 v24, vcc, s33, v12
	v_addc_co_u32_e32 v25, vcc, v17, v13, vcc
	flat_load_dwordx4 v[16:19], v[24:25]
	v_add_co_u32_e32 v2, vcc, 0x2000, v2
	v_addc_co_u32_e32 v3, vcc, 0, v3, vcc
	v_add_co_u32_e32 v4, vcc, 0x2000, v4
	s_and_b64 s[44:45], s[44:45], exec
	v_addc_co_u32_e32 v5, vcc, 0, v5, vcc
	s_or_b64 s[40:41], s[40:41], s[44:45]
	s_waitcnt vmcnt(0) lgkmcnt(0)
	v_add_f64 v[10:11], v[16:17], -v[10:11]
	v_add_f64 v[12:13], v[18:19], -v[8:9]
	flat_store_dwordx4 v[24:25], v[10:13]
.LBB14_103:                             ;   in Loop: Header=BB14_104 Depth=2
	s_or_b64 exec, exec, s[42:43]
	s_and_b64 s[42:43], exec, s[40:41]
	s_or_b64 s[38:39], s[42:43], s[38:39]
	s_andn2_b64 exec, exec, s[38:39]
	s_cbranch_execz .LBB14_118
.LBB14_104:                             ;   Parent Loop BB14_87 Depth=1
                                        ; =>  This Loop Header: Depth=2
                                        ;       Child Loop BB14_106 Depth 3
	v_add_u32_e32 v18, s37, v0
	v_cmp_gt_i32_e32 vcc, s15, v18
	s_or_b64 s[40:41], s[40:41], exec
	s_and_saveexec_b64 s[42:43], vcc
	s_cbranch_execz .LBB14_103
; %bb.105:                              ;   in Loop: Header=BB14_104 Depth=2
	v_add_co_u32_e32 v19, vcc, 0x1ff, v6
	v_add_co_u32_e32 v6, vcc, 0x200, v6
	v_mov_b32_e32 v8, 0
	v_mov_b32_e32 v13, v5
	;; [unrolled: 1-line block ×4, first 2 shown]
	v_addc_co_u32_e32 v7, vcc, 0, v7, vcc
	v_mov_b32_e32 v9, 0
	s_mov_b64 s[44:45], 0
	s_mov_b32 s61, 0
	s_mov_b64 s[46:47], s[24:25]
	s_mov_b64 s[50:51], s[18:19]
	v_mov_b32_e32 v12, v4
	s_mov_b64 s[48:49], s[20:21]
	s_mov_b64 s[52:53], s[16:17]
	v_mov_b32_e32 v11, 0
	v_mov_b32_e32 v16, v2
.LBB14_106:                             ;   Parent Loop BB14_87 Depth=1
                                        ;     Parent Loop BB14_104 Depth=2
                                        ; =>    This Inner Loop Header: Depth=3
	v_cmp_ne_u32_e32 vcc, s44, v6
	s_xor_b64 s[54:55], s[12:13], -1
	s_add_u32 s62, s36, s44
	s_or_b64 s[56:57], s[54:55], vcc
	s_and_saveexec_b64 s[64:65], s[56:57]
	s_xor_b64 s[56:57], exec, s[64:65]
	s_cbranch_execz .LBB14_109
; %bb.107:                              ;   in Loop: Header=BB14_106 Depth=3
	s_cmp_ge_i32 s62, s15
	s_cbranch_scc1 .LBB14_109
; %bb.108:                              ;   in Loop: Header=BB14_106 Depth=3
	s_lshl_b64 s[64:65], s[46:47], 3
	s_and_b32 s63, s64, -16
	v_mov_b32_e32 v25, s65
	v_add_co_u32_e32 v24, vcc, s63, v12
	v_addc_co_u32_e32 v25, vcc, v13, v25, vcc
	flat_load_dwordx4 v[24:27], v[24:25]
	v_mov_b32_e32 v28, s61
	ds_read_b128 v[28:31], v28
	s_waitcnt vmcnt(0) lgkmcnt(0)
	v_mul_f64 v[32:33], v[26:27], v[30:31]
	v_mul_f64 v[30:31], v[24:25], v[30:31]
	v_fma_f64 v[24:25], v[24:25], v[28:29], -v[32:33]
	v_fma_f64 v[26:27], v[26:27], v[28:29], v[30:31]
	v_add_f64 v[10:11], v[10:11], v[24:25]
	v_add_f64 v[8:9], v[8:9], v[26:27]
.LBB14_109:                             ;   in Loop: Header=BB14_106 Depth=3
	s_andn2_saveexec_b64 s[56:57], s[56:57]
	s_cbranch_execz .LBB14_111
; %bb.110:                              ;   in Loop: Header=BB14_106 Depth=3
	v_mov_b32_e32 v24, s61
	ds_read_b128 v[24:27], v24
	s_waitcnt lgkmcnt(0)
	v_add_f64 v[10:11], v[10:11], v[24:25]
	v_add_f64 v[8:9], v[8:9], v[26:27]
.LBB14_111:                             ;   in Loop: Header=BB14_106 Depth=3
	s_or_b64 exec, exec, s[56:57]
	v_cmp_ne_u32_e32 vcc, s44, v19
	s_or_b64 s[54:55], s[54:55], vcc
	s_and_saveexec_b64 s[56:57], s[54:55]
	s_xor_b64 s[54:55], exec, s[56:57]
	s_cbranch_execz .LBB14_114
; %bb.112:                              ;   in Loop: Header=BB14_106 Depth=3
	s_add_i32 s62, s62, 1
	s_cmp_ge_i32 s62, s15
	s_cbranch_scc1 .LBB14_114
; %bb.113:                              ;   in Loop: Header=BB14_106 Depth=3
	s_lshl_b64 s[56:57], s[48:49], 3
	s_and_b32 s56, s56, -16
	v_mov_b32_e32 v25, s57
	v_add_co_u32_e32 v24, vcc, s56, v16
	v_addc_co_u32_e32 v25, vcc, v17, v25, vcc
	flat_load_dwordx4 v[24:27], v[24:25]
	v_mov_b32_e32 v28, s61
	ds_read_b128 v[28:31], v28 offset:16
	s_waitcnt vmcnt(0) lgkmcnt(0)
	v_mul_f64 v[32:33], v[26:27], v[30:31]
	v_mul_f64 v[30:31], v[24:25], v[30:31]
	v_fma_f64 v[24:25], v[24:25], v[28:29], -v[32:33]
	v_fma_f64 v[26:27], v[26:27], v[28:29], v[30:31]
	v_add_f64 v[10:11], v[10:11], v[24:25]
	v_add_f64 v[8:9], v[8:9], v[26:27]
.LBB14_114:                             ;   in Loop: Header=BB14_106 Depth=3
	s_andn2_saveexec_b64 s[54:55], s[54:55]
	s_cbranch_execz .LBB14_116
; %bb.115:                              ;   in Loop: Header=BB14_106 Depth=3
	v_mov_b32_e32 v24, s61
	ds_read_b128 v[24:27], v24 offset:16
	s_waitcnt lgkmcnt(0)
	v_add_f64 v[10:11], v[10:11], v[24:25]
	v_add_f64 v[8:9], v[8:9], v[26:27]
.LBB14_116:                             ;   in Loop: Header=BB14_106 Depth=3
	s_or_b64 exec, exec, s[54:55]
	s_add_u32 s44, s44, 2
	s_addc_u32 s45, s45, 0
	s_add_u32 s54, s52, -8
	s_addc_u32 s55, s53, -1
	s_add_u32 s48, s48, s52
	s_addc_u32 s49, s49, s53
	s_add_i32 s61, s61, 32
	s_add_u32 s52, s50, -8
	v_add_co_u32_e32 v16, vcc, 0xffffffe0, v16
	s_addc_u32 s53, s51, -1
	v_addc_co_u32_e32 v17, vcc, -1, v17, vcc
	s_add_u32 s46, s46, s50
	v_add_co_u32_e32 v12, vcc, 0xffffffe0, v12
	s_addc_u32 s47, s47, s51
	s_cmpk_eq_i32 s44, 0x200
	v_addc_co_u32_e32 v13, vcc, -1, v13, vcc
	s_cbranch_scc1 .LBB14_102
; %bb.117:                              ;   in Loop: Header=BB14_106 Depth=3
	s_mov_b64 s[50:51], s[52:53]
	s_mov_b64 s[52:53], s[54:55]
	s_branch .LBB14_106
.LBB14_118:                             ;   in Loop: Header=BB14_87 Depth=1
	s_or_b64 exec, exec, s[38:39]
.LBB14_119:                             ;   in Loop: Header=BB14_87 Depth=1
	s_and_saveexec_b64 s[36:37], s[0:1]
	s_cbranch_execz .LBB14_86
; %bb.120:                              ;   in Loop: Header=BB14_87 Depth=1
	v_mad_u64_u32 v[6:7], s[0:1], s10, v23, 0
	v_mov_b32_e32 v2, v7
	v_mad_u64_u32 v[7:8], s[0:1], s11, v23, v[2:3]
	ds_read2_b64 v[2:5], v20 offset1:1
	v_mov_b32_e32 v8, s58
	v_lshlrev_b64 v[6:7], 4, v[6:7]
	v_add_co_u32_e32 v6, vcc, s33, v6
	v_addc_co_u32_e32 v7, vcc, v8, v7, vcc
	s_waitcnt lgkmcnt(0)
	flat_store_dwordx4 v[6:7], v[2:5]
	s_branch .LBB14_86
.LBB14_121:
	s_mov_b64 s[0:1], 0
.LBB14_122:
	s_andn2_b64 vcc, exec, s[0:1]
	s_cbranch_vccnz .LBB14_156
; %bb.123:
	s_andn2_b64 vcc, exec, s[8:9]
	s_cbranch_vccnz .LBB14_156
; %bb.124:
	v_mov_b32_e32 v1, 0x4000
	v_mov_b32_e32 v14, 0
	s_add_i32 s28, s15, 0xfffffe00
	v_lshl_or_b32 v20, v0, 4, v1
	s_mov_b32 s26, 0
	s_mov_b32 s27, s15
	v_mov_b32_e32 v1, v14
	v_mov_b32_e32 v21, s7
	s_xor_b64 s[4:5], s[12:13], -1
	s_branch .LBB14_126
.LBB14_125:                             ;   in Loop: Header=BB14_126 Depth=1
	s_or_b64 exec, exec, s[8:9]
	s_add_u32 s27, s27, 0xfffffe00
	s_addc_u32 s26, s26, -1
	s_and_b64 vcc, exec, s[2:3]
	s_mov_b32 s28, s29
	s_waitcnt vmcnt(0) lgkmcnt(0)
	s_barrier
	s_cbranch_vccnz .LBB14_156
.LBB14_126:                             ; =>This Loop Header: Depth=1
                                        ;     Child Loop BB14_130 Depth 2
                                        ;     Child Loop BB14_142 Depth 2
                                        ;       Child Loop BB14_145 Depth 3
	v_add_u32_e32 v15, s28, v0
	v_cmp_gt_i32_e32 vcc, 0, v15
	v_cmp_lt_i32_e64 s[0:1], -1, v15
	v_mov_b32_e32 v16, v14
	s_and_saveexec_b64 s[8:9], s[0:1]
	s_cbranch_execz .LBB14_128
; %bb.127:                              ;   in Loop: Header=BB14_126 Depth=1
	v_mad_u64_u32 v[2:3], s[2:3], s10, v15, 0
	v_mad_u64_u32 v[3:4], s[2:3], s11, v15, v[3:4]
	v_mov_b32_e32 v4, s58
	v_lshlrev_b64 v[2:3], 4, v[2:3]
	v_add_co_u32_e64 v2, s[2:3], s33, v2
	v_addc_co_u32_e64 v3, s[2:3], v4, v3, s[2:3]
	flat_load_dwordx4 v[2:5], v[2:3]
	s_waitcnt vmcnt(0) lgkmcnt(0)
	ds_write2_b64 v20, v[2:3], v[4:5] offset1:1
.LBB14_128:                             ;   in Loop: Header=BB14_126 Depth=1
	s_or_b64 exec, exec, s[8:9]
	v_add_u32_e32 v4, 1, v15
	v_mad_u64_u32 v[4:5], s[2:3], v15, v4, 0
	v_lshlrev_b64 v[6:7], 4, v[15:16]
	v_ashrrev_i32_e32 v3, 31, v15
	v_mov_b32_e32 v2, v15
	v_add_co_u32_e64 v6, s[2:3], s6, v6
	v_lshlrev_b64 v[2:3], 4, v[2:3]
	v_addc_co_u32_e64 v7, s[2:3], v21, v7, s[2:3]
	v_lshlrev_b64 v[4:5], 3, v[4:5]
	v_add_co_u32_e64 v18, s[2:3], s6, v2
	v_addc_co_u32_e64 v19, s[2:3], v21, v3, s[2:3]
	v_and_b32_e32 v2, -16, v4
	v_add_co_u32_e64 v16, s[2:3], v6, v2
	v_addc_co_u32_e64 v17, s[2:3], v7, v5, s[2:3]
	s_or_b64 s[2:3], s[12:13], vcc
	s_movk_i32 s16, 0x1ff
	s_movk_i32 s17, 0x5ff0
	s_xor_b64 s[8:9], s[2:3], -1
	s_waitcnt lgkmcnt(0)
	s_barrier
	s_branch .LBB14_130
.LBB14_129:                             ;   in Loop: Header=BB14_130 Depth=2
	s_or_b64 exec, exec, s[2:3]
	s_add_i32 s16, s16, -1
	s_add_i32 s17, s17, -16
	s_cmp_eq_u32 s16, -1
	s_cbranch_scc1 .LBB14_138
.LBB14_130:                             ;   Parent Loop BB14_126 Depth=1
                                        ; =>  This Inner Loop Header: Depth=2
	v_cmp_eq_u32_e32 vcc, s16, v0
	s_and_b64 s[14:15], vcc, s[8:9]
	s_and_saveexec_b64 s[2:3], s[14:15]
	s_cbranch_execz .LBB14_136
; %bb.131:                              ;   in Loop: Header=BB14_130 Depth=2
	flat_load_dwordx4 v[6:9], v[16:17]
	ds_read_b128 v[2:5], v20
                                        ; implicit-def: $vgpr10_vgpr11
	s_waitcnt vmcnt(0) lgkmcnt(0)
	v_cmp_ngt_f64_e64 s[14:15], |v[6:7]|, |v[8:9]|
	s_and_saveexec_b64 s[18:19], s[14:15]
	s_xor_b64 s[14:15], exec, s[18:19]
	s_cbranch_execz .LBB14_133
; %bb.132:                              ;   in Loop: Header=BB14_130 Depth=2
	v_div_scale_f64 v[10:11], s[18:19], v[8:9], v[8:9], v[6:7]
	v_rcp_f64_e32 v[12:13], v[10:11]
	v_fma_f64 v[22:23], -v[10:11], v[12:13], 1.0
	v_fma_f64 v[12:13], v[12:13], v[22:23], v[12:13]
	v_div_scale_f64 v[22:23], vcc, v[6:7], v[8:9], v[6:7]
	v_fma_f64 v[24:25], -v[10:11], v[12:13], 1.0
	v_fma_f64 v[12:13], v[12:13], v[24:25], v[12:13]
	v_mul_f64 v[24:25], v[22:23], v[12:13]
	v_fma_f64 v[10:11], -v[10:11], v[24:25], v[22:23]
	v_div_fmas_f64 v[10:11], v[10:11], v[12:13], v[24:25]
	v_div_fixup_f64 v[10:11], v[10:11], v[8:9], v[6:7]
	v_fma_f64 v[6:7], v[6:7], v[10:11], v[8:9]
	v_div_scale_f64 v[8:9], s[18:19], v[6:7], v[6:7], 1.0
	v_rcp_f64_e32 v[12:13], v[8:9]
	v_fma_f64 v[22:23], -v[8:9], v[12:13], 1.0
	v_fma_f64 v[12:13], v[12:13], v[22:23], v[12:13]
	v_div_scale_f64 v[22:23], vcc, 1.0, v[6:7], 1.0
	v_fma_f64 v[24:25], -v[8:9], v[12:13], 1.0
	v_fma_f64 v[12:13], v[12:13], v[24:25], v[12:13]
	v_mul_f64 v[24:25], v[22:23], v[12:13]
	v_fma_f64 v[8:9], -v[8:9], v[24:25], v[22:23]
	v_div_fmas_f64 v[8:9], v[8:9], v[12:13], v[24:25]
	v_fma_f64 v[12:13], v[10:11], v[2:3], v[4:5]
	v_fma_f64 v[2:3], v[10:11], v[4:5], -v[2:3]
	v_div_fixup_f64 v[6:7], v[8:9], v[6:7], 1.0
	v_mul_f64 v[10:11], v[12:13], v[6:7]
	v_mul_f64 v[12:13], v[6:7], v[2:3]
                                        ; implicit-def: $vgpr6_vgpr7
                                        ; implicit-def: $vgpr4_vgpr5
.LBB14_133:                             ;   in Loop: Header=BB14_130 Depth=2
	s_andn2_saveexec_b64 s[14:15], s[14:15]
	s_cbranch_execz .LBB14_135
; %bb.134:                              ;   in Loop: Header=BB14_130 Depth=2
	v_div_scale_f64 v[10:11], s[18:19], v[6:7], v[6:7], v[8:9]
	v_rcp_f64_e32 v[12:13], v[10:11]
	v_fma_f64 v[22:23], -v[10:11], v[12:13], 1.0
	v_fma_f64 v[12:13], v[12:13], v[22:23], v[12:13]
	v_div_scale_f64 v[22:23], vcc, v[8:9], v[6:7], v[8:9]
	v_fma_f64 v[24:25], -v[10:11], v[12:13], 1.0
	v_fma_f64 v[12:13], v[12:13], v[24:25], v[12:13]
	v_mul_f64 v[24:25], v[22:23], v[12:13]
	v_fma_f64 v[10:11], -v[10:11], v[24:25], v[22:23]
	v_div_fmas_f64 v[10:11], v[10:11], v[12:13], v[24:25]
	v_div_fixup_f64 v[10:11], v[10:11], v[6:7], v[8:9]
	v_fma_f64 v[6:7], v[8:9], v[10:11], v[6:7]
	v_div_scale_f64 v[8:9], s[18:19], v[6:7], v[6:7], 1.0
	v_rcp_f64_e32 v[12:13], v[8:9]
	v_fma_f64 v[22:23], -v[8:9], v[12:13], 1.0
	v_fma_f64 v[12:13], v[12:13], v[22:23], v[12:13]
	v_div_scale_f64 v[22:23], vcc, 1.0, v[6:7], 1.0
	v_fma_f64 v[24:25], -v[8:9], v[12:13], 1.0
	v_fma_f64 v[12:13], v[12:13], v[24:25], v[12:13]
	v_mul_f64 v[24:25], v[22:23], v[12:13]
	v_fma_f64 v[8:9], -v[8:9], v[24:25], v[22:23]
	v_div_fmas_f64 v[8:9], v[8:9], v[12:13], v[24:25]
	v_fma_f64 v[12:13], v[10:11], v[4:5], v[2:3]
	v_fma_f64 v[2:3], -v[10:11], v[2:3], v[4:5]
	v_div_fixup_f64 v[6:7], v[8:9], v[6:7], 1.0
	v_mul_f64 v[10:11], v[6:7], v[12:13]
	v_mul_f64 v[12:13], v[2:3], v[6:7]
.LBB14_135:                             ;   in Loop: Header=BB14_130 Depth=2
	s_or_b64 exec, exec, s[14:15]
	ds_write_b128 v20, v[10:13]
.LBB14_136:                             ;   in Loop: Header=BB14_130 Depth=2
	s_or_b64 exec, exec, s[2:3]
	s_add_i32 s15, s27, s16
	s_add_i32 s14, s15, 0xfffffe00
	v_or_b32_e32 v2, s14, v15
	v_cmp_gt_u32_e32 vcc, s16, v0
	v_cmp_lt_i32_e64 s[2:3], -1, v2
	s_and_b64 s[18:19], vcc, s[2:3]
	s_waitcnt lgkmcnt(0)
	s_barrier
	s_and_saveexec_b64 s[2:3], s[18:19]
	s_cbranch_execz .LBB14_129
; %bb.137:                              ;   in Loop: Header=BB14_130 Depth=2
	s_add_i32 s18, s15, 0xfffffe01
	s_mul_hi_u32 s15, s18, s14
	s_mul_i32 s14, s18, s14
	s_lshl_b64 s[14:15], s[14:15], 3
	s_and_b32 s14, s14, -16
	v_mov_b32_e32 v3, s15
	v_add_co_u32_e32 v2, vcc, s14, v18
	v_addc_co_u32_e32 v3, vcc, v19, v3, vcc
	flat_load_dwordx4 v[2:5], v[2:3]
	v_mov_b32_e32 v6, s17
	ds_read_b128 v[6:9], v6
	s_waitcnt vmcnt(0) lgkmcnt(0)
	v_mul_f64 v[10:11], v[4:5], v[8:9]
	v_mul_f64 v[8:9], v[2:3], v[8:9]
	v_fma_f64 v[10:11], v[2:3], v[6:7], -v[10:11]
	v_fma_f64 v[6:7], v[4:5], v[6:7], v[8:9]
	ds_read_b128 v[2:5], v20
	s_waitcnt lgkmcnt(0)
	v_add_f64 v[2:3], v[2:3], -v[10:11]
	v_add_f64 v[4:5], v[4:5], -v[6:7]
	ds_write_b128 v20, v[2:5]
	s_branch .LBB14_129
.LBB14_138:                             ;   in Loop: Header=BB14_126 Depth=1
	s_add_i32 s29, s28, 0xfffffe00
	s_cmp_lt_i32 s28, 1
	s_cselect_b64 s[2:3], -1, 0
	s_and_b64 vcc, exec, s[2:3]
	s_waitcnt lgkmcnt(0)
	s_barrier
	s_cbranch_vccnz .LBB14_154
; %bb.139:                              ;   in Loop: Header=BB14_126 Depth=1
	v_mov_b32_e32 v11, v1
	s_mov_b64 s[8:9], 0
	v_mov_b32_e32 v10, v0
	s_mov_b32 s30, s29
                                        ; implicit-def: $sgpr14_sgpr15
	s_branch .LBB14_142
.LBB14_140:                             ;   in Loop: Header=BB14_142 Depth=2
	v_mad_u64_u32 v[2:3], s[18:19], s10, v13, 0
	s_add_i32 s20, s30, 0xfffffe00
	s_cmp_lt_i32 s30, 1
	v_mad_u64_u32 v[3:4], s[18:19], s11, v13, v[3:4]
	v_mov_b32_e32 v4, s58
	s_cselect_b64 s[18:19], -1, 0
	v_lshlrev_b64 v[2:3], 4, v[2:3]
	s_andn2_b64 s[14:15], s[14:15], exec
	v_add_co_u32_e32 v6, vcc, s33, v2
	v_addc_co_u32_e32 v7, vcc, v4, v3, vcc
	flat_load_dwordx4 v[2:5], v[6:7]
	v_add_co_u32_e32 v10, vcc, 0xfffffe00, v10
	s_and_b64 s[18:19], s[18:19], exec
	v_addc_co_u32_e32 v11, vcc, -1, v11, vcc
	s_or_b64 s[14:15], s[14:15], s[18:19]
	s_mov_b32 s30, s20
	s_waitcnt vmcnt(0) lgkmcnt(0)
	v_add_f64 v[2:3], v[2:3], -v[18:19]
	v_add_f64 v[4:5], v[4:5], -v[16:17]
	flat_store_dwordx4 v[6:7], v[2:5]
.LBB14_141:                             ;   in Loop: Header=BB14_142 Depth=2
	s_or_b64 exec, exec, s[16:17]
	s_and_b64 s[16:17], exec, s[14:15]
	s_or_b64 s[8:9], s[16:17], s[8:9]
	s_andn2_b64 exec, exec, s[8:9]
	s_cbranch_execz .LBB14_153
.LBB14_142:                             ;   Parent Loop BB14_126 Depth=1
                                        ; =>  This Loop Header: Depth=2
                                        ;       Child Loop BB14_145 Depth 3
	v_add_u32_e32 v13, s30, v0
	v_cmp_lt_i32_e32 vcc, -1, v13
	s_or_b64 s[14:15], s[14:15], exec
	s_and_saveexec_b64 s[16:17], vcc
	s_cbranch_execz .LBB14_141
; %bb.143:                              ;   in Loop: Header=BB14_142 Depth=2
	v_lshlrev_b64 v[2:3], 4, v[13:14]
	v_mov_b32_e32 v4, s7
	v_add_co_u32_e32 v12, vcc, s6, v2
	v_mov_b32_e32 v16, 0
	v_mov_b32_e32 v18, 0
	v_addc_co_u32_e32 v22, vcc, v4, v3, vcc
	v_add_co_u32_e32 v23, vcc, 0xfffffdff, v10
	v_add_co_u32_e32 v24, vcc, 0xfffffe00, v10
	v_mov_b32_e32 v17, 0
	s_movk_i32 s31, 0x4000
	v_mov_b32_e32 v19, 0
	s_mov_b64 s[18:19], 0
	s_branch .LBB14_145
.LBB14_144:                             ;   in Loop: Header=BB14_145 Depth=3
	s_or_b64 exec, exec, s[20:21]
	s_waitcnt lgkmcnt(0)
	v_add_f64 v[4:5], v[16:17], v[4:5]
	v_add_f64 v[2:3], v[18:19], v[2:3]
	s_add_i32 s31, s31, 32
	s_add_u32 s18, s18, 2
	s_addc_u32 s19, s19, 0
	s_cmpk_eq_i32 s18, 0x200
	v_add_f64 v[16:17], v[4:5], v[8:9]
	v_add_f64 v[18:19], v[2:3], v[6:7]
	s_cbranch_scc1 .LBB14_140
.LBB14_145:                             ;   Parent Loop BB14_126 Depth=1
                                        ;     Parent Loop BB14_142 Depth=2
                                        ; =>    This Inner Loop Header: Depth=3
	v_cmp_ne_u32_e32 vcc, s18, v24
	s_or_b64 s[24:25], s[4:5], vcc
                                        ; implicit-def: $vgpr4_vgpr5
                                        ; implicit-def: $sgpr20_sgpr21
                                        ; implicit-def: $sgpr22_sgpr23
	s_and_saveexec_b64 s[34:35], s[24:25]
	s_xor_b64 s[24:25], exec, s[34:35]
	s_cbranch_execz .LBB14_147
; %bb.146:                              ;   in Loop: Header=BB14_145 Depth=3
	s_add_u32 s20, s27, s18
	s_addc_u32 s21, s26, s19
	s_add_u32 s22, s20, 0xfffffe01
	s_addc_u32 s23, s21, 0
	;; [unrolled: 2-line block ×3, first 2 shown]
	s_mul_i32 s35, s22, s35
	s_mul_hi_u32 s36, s22, s34
	s_add_i32 s35, s36, s35
	s_mul_i32 s34, s22, s34
	s_lshl_b64 s[34:35], s[34:35], 3
	s_and_b32 s34, s34, -16
	v_mov_b32_e32 v3, s35
	v_add_co_u32_e32 v2, vcc, s34, v12
	v_addc_co_u32_e32 v3, vcc, v22, v3, vcc
	flat_load_dwordx4 v[2:5], v[2:3]
	v_mov_b32_e32 v6, s31
	ds_read_b128 v[6:9], v6
	s_waitcnt vmcnt(0) lgkmcnt(0)
	v_mul_f64 v[25:26], v[4:5], v[8:9]
	v_mul_f64 v[8:9], v[2:3], v[8:9]
	v_fma_f64 v[2:3], v[2:3], v[6:7], -v[25:26]
	v_fma_f64 v[4:5], v[4:5], v[6:7], v[8:9]
.LBB14_147:                             ;   in Loop: Header=BB14_145 Depth=3
	s_or_saveexec_b64 s[24:25], s[24:25]
	v_mov_b32_e32 v6, s22
	v_mov_b32_e32 v7, s23
	;; [unrolled: 1-line block ×4, first 2 shown]
	s_xor_b64 exec, exec, s[24:25]
	s_cbranch_execz .LBB14_149
; %bb.148:                              ;   in Loop: Header=BB14_145 Depth=3
	v_mov_b32_e32 v2, s31
	s_add_u32 s20, s27, s18
	ds_read_b128 v[2:5], v2
	s_addc_u32 s21, s26, s19
	s_add_u32 s22, s20, 0xfffffe01
	s_addc_u32 s23, s21, 0
	v_mov_b32_e32 v6, s22
	v_mov_b32_e32 v7, s23
	;; [unrolled: 1-line block ×4, first 2 shown]
.LBB14_149:                             ;   in Loop: Header=BB14_145 Depth=3
	s_or_b64 exec, exec, s[24:25]
	v_cmp_ne_u32_e32 vcc, s18, v23
	s_or_b64 s[20:21], s[4:5], vcc
                                        ; implicit-def: $vgpr8_vgpr9
	s_and_saveexec_b64 s[22:23], s[20:21]
	s_xor_b64 s[20:21], exec, s[22:23]
	s_cbranch_execz .LBB14_151
; %bb.150:                              ;   in Loop: Header=BB14_145 Depth=3
	v_add_u32_e32 v7, 0xfffffe02, v7
	v_mad_u64_u32 v[6:7], s[22:23], v7, v6, 0
	v_mov_b32_e32 v25, s31
	ds_read_b128 v[25:28], v25 offset:16
	v_lshlrev_b64 v[6:7], 3, v[6:7]
	v_and_b32_e32 v6, -16, v6
	v_add_co_u32_e32 v6, vcc, v12, v6
	v_addc_co_u32_e32 v7, vcc, v22, v7, vcc
	flat_load_dwordx4 v[6:9], v[6:7]
	s_waitcnt vmcnt(0) lgkmcnt(0)
	v_mul_f64 v[29:30], v[8:9], v[27:28]
	v_mul_f64 v[27:28], v[6:7], v[27:28]
	v_fma_f64 v[6:7], v[6:7], v[25:26], -v[29:30]
	v_fma_f64 v[8:9], v[8:9], v[25:26], v[27:28]
.LBB14_151:                             ;   in Loop: Header=BB14_145 Depth=3
	s_andn2_saveexec_b64 s[20:21], s[20:21]
	s_cbranch_execz .LBB14_144
; %bb.152:                              ;   in Loop: Header=BB14_145 Depth=3
	v_mov_b32_e32 v6, s31
	ds_read_b128 v[6:9], v6 offset:16
	s_branch .LBB14_144
.LBB14_153:                             ;   in Loop: Header=BB14_126 Depth=1
	s_or_b64 exec, exec, s[8:9]
.LBB14_154:                             ;   in Loop: Header=BB14_126 Depth=1
	s_and_saveexec_b64 s[8:9], s[0:1]
	s_cbranch_execz .LBB14_125
; %bb.155:                              ;   in Loop: Header=BB14_126 Depth=1
	v_mad_u64_u32 v[6:7], s[0:1], s10, v15, 0
	v_mov_b32_e32 v2, v7
	v_mad_u64_u32 v[7:8], s[0:1], s11, v15, v[2:3]
	ds_read2_b64 v[2:5], v20 offset1:1
	v_mov_b32_e32 v8, s58
	v_lshlrev_b64 v[6:7], 4, v[6:7]
	v_add_co_u32_e32 v6, vcc, s33, v6
	v_addc_co_u32_e32 v7, vcc, v8, v7, vcc
	s_waitcnt lgkmcnt(0)
	flat_store_dwordx4 v[6:7], v[2:5]
	s_branch .LBB14_125
.LBB14_156:
	s_endpgm
	.section	.rodata,"a",@progbits
	.p2align	6, 0x0
	.amdhsa_kernel _ZL19rocblas_tpsv_kernelILb1ELi512EPKPK19rocblas_complex_numIdEPKPS1_Ev18rocblas_operation_bbiT1_llT2_lll
		.amdhsa_group_segment_fixed_size 32768
		.amdhsa_private_segment_fixed_size 0
		.amdhsa_kernarg_size 72
		.amdhsa_user_sgpr_count 6
		.amdhsa_user_sgpr_private_segment_buffer 1
		.amdhsa_user_sgpr_dispatch_ptr 0
		.amdhsa_user_sgpr_queue_ptr 0
		.amdhsa_user_sgpr_kernarg_segment_ptr 1
		.amdhsa_user_sgpr_dispatch_id 0
		.amdhsa_user_sgpr_flat_scratch_init 0
		.amdhsa_user_sgpr_private_segment_size 0
		.amdhsa_uses_dynamic_stack 0
		.amdhsa_system_sgpr_private_segment_wavefront_offset 0
		.amdhsa_system_sgpr_workgroup_id_x 1
		.amdhsa_system_sgpr_workgroup_id_y 0
		.amdhsa_system_sgpr_workgroup_id_z 0
		.amdhsa_system_sgpr_workgroup_info 0
		.amdhsa_system_vgpr_workitem_id 0
		.amdhsa_next_free_vgpr 49
		.amdhsa_next_free_sgpr 98
		.amdhsa_reserve_vcc 1
		.amdhsa_reserve_flat_scratch 0
		.amdhsa_float_round_mode_32 0
		.amdhsa_float_round_mode_16_64 0
		.amdhsa_float_denorm_mode_32 3
		.amdhsa_float_denorm_mode_16_64 3
		.amdhsa_dx10_clamp 1
		.amdhsa_ieee_mode 1
		.amdhsa_fp16_overflow 0
		.amdhsa_exception_fp_ieee_invalid_op 0
		.amdhsa_exception_fp_denorm_src 0
		.amdhsa_exception_fp_ieee_div_zero 0
		.amdhsa_exception_fp_ieee_overflow 0
		.amdhsa_exception_fp_ieee_underflow 0
		.amdhsa_exception_fp_ieee_inexact 0
		.amdhsa_exception_int_div_zero 0
	.end_amdhsa_kernel
	.section	.text._ZL19rocblas_tpsv_kernelILb1ELi512EPKPK19rocblas_complex_numIdEPKPS1_Ev18rocblas_operation_bbiT1_llT2_lll,"axG",@progbits,_ZL19rocblas_tpsv_kernelILb1ELi512EPKPK19rocblas_complex_numIdEPKPS1_Ev18rocblas_operation_bbiT1_llT2_lll,comdat
.Lfunc_end14:
	.size	_ZL19rocblas_tpsv_kernelILb1ELi512EPKPK19rocblas_complex_numIdEPKPS1_Ev18rocblas_operation_bbiT1_llT2_lll, .Lfunc_end14-_ZL19rocblas_tpsv_kernelILb1ELi512EPKPK19rocblas_complex_numIdEPKPS1_Ev18rocblas_operation_bbiT1_llT2_lll
                                        ; -- End function
	.set _ZL19rocblas_tpsv_kernelILb1ELi512EPKPK19rocblas_complex_numIdEPKPS1_Ev18rocblas_operation_bbiT1_llT2_lll.num_vgpr, 44
	.set _ZL19rocblas_tpsv_kernelILb1ELi512EPKPK19rocblas_complex_numIdEPKPS1_Ev18rocblas_operation_bbiT1_llT2_lll.num_agpr, 0
	.set _ZL19rocblas_tpsv_kernelILb1ELi512EPKPK19rocblas_complex_numIdEPKPS1_Ev18rocblas_operation_bbiT1_llT2_lll.numbered_sgpr, 66
	.set _ZL19rocblas_tpsv_kernelILb1ELi512EPKPK19rocblas_complex_numIdEPKPS1_Ev18rocblas_operation_bbiT1_llT2_lll.num_named_barrier, 0
	.set _ZL19rocblas_tpsv_kernelILb1ELi512EPKPK19rocblas_complex_numIdEPKPS1_Ev18rocblas_operation_bbiT1_llT2_lll.private_seg_size, 0
	.set _ZL19rocblas_tpsv_kernelILb1ELi512EPKPK19rocblas_complex_numIdEPKPS1_Ev18rocblas_operation_bbiT1_llT2_lll.uses_vcc, 1
	.set _ZL19rocblas_tpsv_kernelILb1ELi512EPKPK19rocblas_complex_numIdEPKPS1_Ev18rocblas_operation_bbiT1_llT2_lll.uses_flat_scratch, 0
	.set _ZL19rocblas_tpsv_kernelILb1ELi512EPKPK19rocblas_complex_numIdEPKPS1_Ev18rocblas_operation_bbiT1_llT2_lll.has_dyn_sized_stack, 0
	.set _ZL19rocblas_tpsv_kernelILb1ELi512EPKPK19rocblas_complex_numIdEPKPS1_Ev18rocblas_operation_bbiT1_llT2_lll.has_recursion, 0
	.set _ZL19rocblas_tpsv_kernelILb1ELi512EPKPK19rocblas_complex_numIdEPKPS1_Ev18rocblas_operation_bbiT1_llT2_lll.has_indirect_call, 0
	.section	.AMDGPU.csdata,"",@progbits
; Kernel info:
; codeLenInByte = 7836
; TotalNumSgprs: 70
; NumVgprs: 44
; ScratchSize: 0
; MemoryBound: 0
; FloatMode: 240
; IeeeMode: 1
; LDSByteSize: 32768 bytes/workgroup (compile time only)
; SGPRBlocks: 12
; VGPRBlocks: 12
; NumSGPRsForWavesPerEU: 102
; NumVGPRsForWavesPerEU: 49
; Occupancy: 4
; WaveLimiterHint : 1
; COMPUTE_PGM_RSRC2:SCRATCH_EN: 0
; COMPUTE_PGM_RSRC2:USER_SGPR: 6
; COMPUTE_PGM_RSRC2:TRAP_HANDLER: 0
; COMPUTE_PGM_RSRC2:TGID_X_EN: 1
; COMPUTE_PGM_RSRC2:TGID_Y_EN: 0
; COMPUTE_PGM_RSRC2:TGID_Z_EN: 0
; COMPUTE_PGM_RSRC2:TIDIG_COMP_CNT: 0
	.section	.text._ZL19rocblas_tpsv_kernelILb0ELi512EPKPK19rocblas_complex_numIdEPKPS1_Ev18rocblas_operation_bbiT1_llT2_lll,"axG",@progbits,_ZL19rocblas_tpsv_kernelILb0ELi512EPKPK19rocblas_complex_numIdEPKPS1_Ev18rocblas_operation_bbiT1_llT2_lll,comdat
	.globl	_ZL19rocblas_tpsv_kernelILb0ELi512EPKPK19rocblas_complex_numIdEPKPS1_Ev18rocblas_operation_bbiT1_llT2_lll ; -- Begin function _ZL19rocblas_tpsv_kernelILb0ELi512EPKPK19rocblas_complex_numIdEPKPS1_Ev18rocblas_operation_bbiT1_llT2_lll
	.p2align	8
	.type	_ZL19rocblas_tpsv_kernelILb0ELi512EPKPK19rocblas_complex_numIdEPKPS1_Ev18rocblas_operation_bbiT1_llT2_lll,@function
_ZL19rocblas_tpsv_kernelILb0ELi512EPKPK19rocblas_complex_numIdEPKPS1_Ev18rocblas_operation_bbiT1_llT2_lll: ; @_ZL19rocblas_tpsv_kernelILb0ELi512EPKPK19rocblas_complex_numIdEPKPS1_Ev18rocblas_operation_bbiT1_llT2_lll
; %bb.0:
	s_load_dwordx2 s[22:23], s[4:5], 0x0
	s_load_dwordx2 s[14:15], s[4:5], 0x4
	s_load_dwordx4 s[0:3], s[4:5], 0x10
	s_load_dwordx2 s[24:25], s[4:5], 0x28
	s_mov_b32 s7, 0
	s_waitcnt lgkmcnt(0)
	s_bitcmp1_b32 s23, 0
	s_cselect_b64 s[8:9], -1, 0
	s_xor_b64 s[20:21], s[8:9], -1
	s_bitcmp1_b32 s14, 8
	s_cselect_b64 s[12:13], -1, 0
	s_lshl_b64 s[26:27], s[6:7], 3
	s_add_u32 s0, s0, s26
	s_addc_u32 s1, s1, s27
	s_load_dwordx2 s[16:17], s[0:1], 0x0
	s_load_dwordx4 s[8:11], s[4:5], 0x30
	s_lshl_b64 s[18:19], s[2:3], 4
	s_waitcnt lgkmcnt(0)
	s_add_u32 s6, s16, s18
	s_addc_u32 s7, s17, s19
	s_add_u32 s0, s24, s26
	s_addc_u32 s1, s25, s27
	s_load_dwordx2 s[0:1], s[0:1], 0x0
	s_lshl_b64 s[2:3], s[8:9], 4
	s_waitcnt lgkmcnt(0)
	s_add_u32 s33, s0, s2
	s_addc_u32 s58, s1, s3
	s_cmp_gt_i32 s15, 0
	s_cselect_b64 s[8:9], -1, 0
	s_cmpk_lg_i32 s22, 0x6f
	s_mov_b64 s[0:1], -1
	s_cbranch_scc0 .LBB15_82
; %bb.1:
	s_and_b64 vcc, exec, s[20:21]
	s_cbranch_vccz .LBB15_44
; %bb.2:
	s_andn2_b64 vcc, exec, s[8:9]
	s_cbranch_vccnz .LBB15_43
; %bb.3:
	s_lshl_b32 s2, s15, 1
	s_ashr_i32 s1, s15, 31
	s_mov_b32 s0, s15
	s_add_i32 s30, s15, 0xfffffe00
	s_or_b32 s14, s2, 1
	s_lshl_b64 s[0:1], s[0:1], 4
	s_add_u32 s0, s18, s0
	s_addc_u32 s1, s19, s1
	s_add_u32 s0, s16, s0
	v_mov_b32_e32 v1, 0x2000
	s_addc_u32 s1, s17, s1
	v_lshl_or_b32 v26, v0, 4, v1
	s_add_u32 s4, s0, 0xffffe000
	v_add_u32_e32 v1, s15, v0
	v_sub_u32_e32 v27, 0, v0
	s_addc_u32 s5, s1, -1
	v_add_u32_e32 v28, 0xfffffc00, v1
	s_ashr_i32 s34, s2, 31
	v_mov_b32_e32 v17, 0
	v_mov_b32_e32 v29, s7
	s_movk_i32 s35, 0x400
	s_xor_b64 s[22:23], s[12:13], -1
	s_movk_i32 s36, 0x401
	s_movk_i32 s37, 0x402
	s_movk_i32 s38, 0x403
	s_movk_i32 s39, 0x2000
	s_branch .LBB15_5
.LBB15_4:                               ;   in Loop: Header=BB15_5 Depth=1
	s_or_b64 exec, exec, s[24:25]
	s_add_u32 s4, s4, 0xffffe000
	s_addc_u32 s5, s5, -1
	v_add_u32_e32 v28, 0xfffffe00, v28
	s_andn2_b64 vcc, exec, s[2:3]
	s_mov_b32 s30, s40
	s_waitcnt vmcnt(0) lgkmcnt(0)
	s_barrier
	s_cbranch_vccz .LBB15_43
.LBB15_5:                               ; =>This Loop Header: Depth=1
                                        ;     Child Loop BB15_9 Depth 2
                                        ;     Child Loop BB15_21 Depth 2
                                        ;       Child Loop BB15_24 Depth 3
	v_add_u32_e32 v30, s30, v0
	v_cmp_gt_i32_e64 s[2:3], 0, v30
	v_cmp_lt_i32_e64 s[0:1], -1, v30
	s_and_saveexec_b64 s[24:25], s[0:1]
	s_cbranch_execz .LBB15_7
; %bb.6:                                ;   in Loop: Header=BB15_5 Depth=1
	v_mad_u64_u32 v[1:2], s[26:27], s10, v30, 0
	v_mad_u64_u32 v[2:3], s[26:27], s11, v30, v[2:3]
	v_mov_b32_e32 v3, s58
	v_lshlrev_b64 v[1:2], 4, v[1:2]
	v_add_co_u32_e32 v1, vcc, s33, v1
	v_addc_co_u32_e32 v2, vcc, v3, v2, vcc
	flat_load_dwordx4 v[1:4], v[1:2]
	s_waitcnt vmcnt(0) lgkmcnt(0)
	ds_write2_b64 v26, v[1:2], v[3:4] offset1:1
.LBB15_7:                               ;   in Loop: Header=BB15_5 Depth=1
	s_or_b64 exec, exec, s[24:25]
	v_sub_u32_e32 v3, s14, v30
	v_mad_u64_u32 v[1:2], s[24:25], v30, v3, 0
	v_ashrrev_i32_e32 v3, 31, v3
	s_not_b32 s31, s30
	v_mad_u64_u32 v[2:3], s[24:25], v30, v3, v[2:3]
	s_or_b64 s[24:25], s[12:13], s[2:3]
	s_movk_i32 s40, 0x1ff
	v_lshlrev_b64 v[1:2], 3, v[1:2]
	s_movk_i32 s41, 0x3ff0
	v_and_b32_e32 v1, -16, v1
	v_add_co_u32_e32 v13, vcc, s6, v1
	v_addc_co_u32_e32 v14, vcc, v29, v2, vcc
	s_xor_b64 s[24:25], s[24:25], -1
	s_waitcnt lgkmcnt(0)
	s_barrier
	s_branch .LBB15_9
.LBB15_8:                               ;   in Loop: Header=BB15_9 Depth=2
	s_or_b64 exec, exec, s[26:27]
	s_add_i32 s40, s40, -1
	s_add_i32 s41, s41, -16
	s_cmp_eq_u32 s40, -1
	s_cbranch_scc1 .LBB15_17
.LBB15_9:                               ;   Parent Loop BB15_5 Depth=1
                                        ; =>  This Inner Loop Header: Depth=2
	v_add_u32_e32 v16, s40, v27
	v_cmp_eq_u32_e32 vcc, 0, v16
	s_and_b64 s[28:29], vcc, s[24:25]
	s_and_saveexec_b64 s[26:27], s[28:29]
	s_cbranch_execz .LBB15_15
; %bb.10:                               ;   in Loop: Header=BB15_9 Depth=2
	flat_load_dwordx4 v[5:8], v[13:14]
	ds_read_b128 v[1:4], v26
                                        ; implicit-def: $vgpr9_vgpr10
	s_waitcnt vmcnt(0) lgkmcnt(0)
	v_cmp_ngt_f64_e64 s[28:29], |v[5:6]|, |v[7:8]|
	s_and_saveexec_b64 s[42:43], s[28:29]
	s_xor_b64 s[28:29], exec, s[42:43]
	s_cbranch_execz .LBB15_12
; %bb.11:                               ;   in Loop: Header=BB15_9 Depth=2
	v_div_scale_f64 v[9:10], s[42:43], v[7:8], v[7:8], v[5:6]
	v_rcp_f64_e32 v[11:12], v[9:10]
	v_fma_f64 v[18:19], -v[9:10], v[11:12], 1.0
	v_fma_f64 v[11:12], v[11:12], v[18:19], v[11:12]
	v_div_scale_f64 v[18:19], vcc, v[5:6], v[7:8], v[5:6]
	v_fma_f64 v[20:21], -v[9:10], v[11:12], 1.0
	v_fma_f64 v[11:12], v[11:12], v[20:21], v[11:12]
	v_mul_f64 v[20:21], v[18:19], v[11:12]
	v_fma_f64 v[9:10], -v[9:10], v[20:21], v[18:19]
	v_div_fmas_f64 v[9:10], v[9:10], v[11:12], v[20:21]
	v_div_fixup_f64 v[9:10], v[9:10], v[7:8], v[5:6]
	v_fma_f64 v[5:6], v[5:6], v[9:10], v[7:8]
	v_div_scale_f64 v[7:8], s[42:43], v[5:6], v[5:6], 1.0
	v_rcp_f64_e32 v[11:12], v[7:8]
	v_fma_f64 v[18:19], -v[7:8], v[11:12], 1.0
	v_fma_f64 v[11:12], v[11:12], v[18:19], v[11:12]
	v_div_scale_f64 v[18:19], vcc, 1.0, v[5:6], 1.0
	v_fma_f64 v[20:21], -v[7:8], v[11:12], 1.0
	v_fma_f64 v[11:12], v[11:12], v[20:21], v[11:12]
	v_mul_f64 v[20:21], v[18:19], v[11:12]
	v_fma_f64 v[7:8], -v[7:8], v[20:21], v[18:19]
	v_div_fmas_f64 v[7:8], v[7:8], v[11:12], v[20:21]
	v_fma_f64 v[11:12], v[9:10], v[1:2], v[3:4]
	v_fma_f64 v[1:2], v[9:10], v[3:4], -v[1:2]
	v_div_fixup_f64 v[5:6], v[7:8], v[5:6], 1.0
	v_mul_f64 v[9:10], v[11:12], v[5:6]
	v_mul_f64 v[11:12], v[5:6], v[1:2]
                                        ; implicit-def: $vgpr5_vgpr6
                                        ; implicit-def: $vgpr3_vgpr4
.LBB15_12:                              ;   in Loop: Header=BB15_9 Depth=2
	s_andn2_saveexec_b64 s[28:29], s[28:29]
	s_cbranch_execz .LBB15_14
; %bb.13:                               ;   in Loop: Header=BB15_9 Depth=2
	v_div_scale_f64 v[9:10], s[42:43], v[5:6], v[5:6], v[7:8]
	v_rcp_f64_e32 v[11:12], v[9:10]
	v_fma_f64 v[18:19], -v[9:10], v[11:12], 1.0
	v_fma_f64 v[11:12], v[11:12], v[18:19], v[11:12]
	v_div_scale_f64 v[18:19], vcc, v[7:8], v[5:6], v[7:8]
	v_fma_f64 v[20:21], -v[9:10], v[11:12], 1.0
	v_fma_f64 v[11:12], v[11:12], v[20:21], v[11:12]
	v_mul_f64 v[20:21], v[18:19], v[11:12]
	v_fma_f64 v[9:10], -v[9:10], v[20:21], v[18:19]
	v_div_fmas_f64 v[9:10], v[9:10], v[11:12], v[20:21]
	v_div_fixup_f64 v[9:10], v[9:10], v[5:6], v[7:8]
	v_fma_f64 v[5:6], v[7:8], v[9:10], v[5:6]
	v_div_scale_f64 v[7:8], s[42:43], v[5:6], v[5:6], 1.0
	v_rcp_f64_e32 v[11:12], v[7:8]
	v_fma_f64 v[18:19], -v[7:8], v[11:12], 1.0
	v_fma_f64 v[11:12], v[11:12], v[18:19], v[11:12]
	v_div_scale_f64 v[18:19], vcc, 1.0, v[5:6], 1.0
	v_fma_f64 v[20:21], -v[7:8], v[11:12], 1.0
	v_fma_f64 v[11:12], v[11:12], v[20:21], v[11:12]
	v_mul_f64 v[20:21], v[18:19], v[11:12]
	v_fma_f64 v[7:8], -v[7:8], v[20:21], v[18:19]
	v_div_fmas_f64 v[7:8], v[7:8], v[11:12], v[20:21]
	v_fma_f64 v[11:12], v[9:10], v[3:4], v[1:2]
	v_fma_f64 v[1:2], -v[9:10], v[1:2], v[3:4]
	v_div_fixup_f64 v[5:6], v[7:8], v[5:6], 1.0
	v_mul_f64 v[9:10], v[5:6], v[11:12]
	v_mul_f64 v[11:12], v[1:2], v[5:6]
.LBB15_14:                              ;   in Loop: Header=BB15_9 Depth=2
	s_or_b64 exec, exec, s[28:29]
	ds_write_b128 v26, v[9:12]
.LBB15_15:                              ;   in Loop: Header=BB15_9 Depth=2
	s_or_b64 exec, exec, s[26:27]
	s_cmp_le_i32 s40, s31
	v_cmp_le_u32_e32 vcc, s40, v0
	s_cselect_b64 s[26:27], -1, 0
	s_or_b64 s[26:27], vcc, s[26:27]
	s_nor_b64 s[28:29], s[2:3], s[26:27]
	s_waitcnt lgkmcnt(0)
	s_barrier
	s_and_saveexec_b64 s[26:27], s[28:29]
	s_cbranch_execz .LBB15_8
; %bb.16:                               ;   in Loop: Header=BB15_9 Depth=2
	v_lshlrev_b64 v[1:2], 4, v[16:17]
	v_mov_b32_e32 v5, s41
	v_add_co_u32_e32 v1, vcc, v13, v1
	v_addc_co_u32_e32 v2, vcc, v14, v2, vcc
	flat_load_dwordx4 v[1:4], v[1:2]
	ds_read_b128 v[5:8], v5
	s_waitcnt vmcnt(0) lgkmcnt(0)
	v_mul_f64 v[9:10], v[3:4], v[7:8]
	v_mul_f64 v[7:8], v[1:2], v[7:8]
	v_fma_f64 v[9:10], v[1:2], v[5:6], -v[9:10]
	v_fma_f64 v[5:6], v[3:4], v[5:6], v[7:8]
	ds_read_b128 v[1:4], v26
	s_waitcnt lgkmcnt(0)
	v_add_f64 v[1:2], v[1:2], -v[9:10]
	v_add_f64 v[3:4], v[3:4], -v[5:6]
	ds_write_b128 v26, v[1:4]
	s_branch .LBB15_8
.LBB15_17:                              ;   in Loop: Header=BB15_5 Depth=1
	s_add_i32 s40, s30, 0xfffffe00
	s_cmp_lt_i32 s30, 1
	s_cselect_b64 s[2:3], -1, 0
	s_and_b64 vcc, exec, s[2:3]
	s_waitcnt lgkmcnt(0)
	s_barrier
	s_cbranch_vccnz .LBB15_41
; %bb.18:                               ;   in Loop: Header=BB15_5 Depth=1
	v_mad_i64_i32 v[18:19], s[24:25], v28, -16, s[4:5]
	v_ashrrev_i32_e32 v1, 31, v28
	v_mov_b32_e32 v2, s34
	v_sub_co_u32_e32 v31, vcc, s14, v28
	v_subb_co_u32_e32 v32, vcc, v2, v1, vcc
	s_mov_b64 s[24:25], 0
	v_mov_b32_e32 v33, v28
	v_mov_b32_e32 v34, v0
	s_mov_b32 s41, s40
                                        ; implicit-def: $sgpr26_sgpr27
	s_branch .LBB15_21
.LBB15_19:                              ;   in Loop: Header=BB15_21 Depth=2
	v_mad_u64_u32 v[1:2], s[30:31], s10, v35, 0
	s_add_i32 s42, s41, 0xfffffe00
	s_cmp_lt_i32 s41, 1
	v_mad_u64_u32 v[2:3], s[30:31], s11, v35, v[2:3]
	v_mov_b32_e32 v3, s58
	s_cselect_b64 s[30:31], -1, 0
	v_lshlrev_b64 v[1:2], 4, v[1:2]
	s_andn2_b64 s[26:27], s[26:27], exec
	v_add_co_u32_e32 v5, vcc, s33, v1
	v_addc_co_u32_e32 v6, vcc, v3, v2, vcc
	flat_load_dwordx4 v[1:4], v[5:6]
	v_add_co_u32_e32 v18, vcc, s39, v18
	v_addc_co_u32_e32 v19, vcc, 0, v19, vcc
	v_add_co_u32_e32 v31, vcc, 0x200, v31
	s_and_b64 s[30:31], s[30:31], exec
	v_add_u32_e32 v34, 0xfffffe00, v34
	v_add_u32_e32 v33, 0xfffffe00, v33
	v_addc_co_u32_e32 v32, vcc, 0, v32, vcc
	s_or_b64 s[26:27], s[26:27], s[30:31]
	s_mov_b32 s41, s42
	s_waitcnt vmcnt(0) lgkmcnt(0)
	v_add_f64 v[1:2], v[1:2], -v[22:23]
	v_add_f64 v[3:4], v[3:4], -v[20:21]
	flat_store_dwordx4 v[5:6], v[1:4]
.LBB15_20:                              ;   in Loop: Header=BB15_21 Depth=2
	s_or_b64 exec, exec, s[28:29]
	s_and_b64 s[28:29], exec, s[26:27]
	s_or_b64 s[24:25], s[28:29], s[24:25]
	s_andn2_b64 exec, exec, s[24:25]
	s_cbranch_execz .LBB15_40
.LBB15_21:                              ;   Parent Loop BB15_5 Depth=1
                                        ; =>  This Loop Header: Depth=2
                                        ;       Child Loop BB15_24 Depth 3
	v_add_u32_e32 v35, s41, v0
	v_cmp_lt_i32_e32 vcc, -1, v35
	s_or_b64 s[26:27], s[26:27], exec
	s_and_saveexec_b64 s[28:29], vcc
	s_cbranch_execz .LBB15_20
; %bb.22:                               ;   in Loop: Header=BB15_21 Depth=2
	v_mad_u64_u32 v[1:2], s[30:31], v31, v33, 0
	v_mov_b32_e32 v20, 0
	v_mov_b32_e32 v22, 0
	v_mad_u64_u32 v[2:3], s[30:31], v32, v33, v[2:3]
	v_mov_b32_e32 v21, 0
	s_movk_i32 s42, 0x2000
	v_lshlrev_b64 v[1:2], 3, v[1:2]
	v_mov_b32_e32 v23, 0
	v_and_b32_e32 v1, -16, v1
	v_add_co_u32_e32 v24, vcc, v18, v1
	v_addc_co_u32_e32 v25, vcc, v19, v2, vcc
	s_movk_i32 s43, 0x200
	s_branch .LBB15_24
.LBB15_23:                              ;   in Loop: Header=BB15_24 Depth=3
	s_or_b64 exec, exec, s[30:31]
	s_waitcnt lgkmcnt(0)
	v_add_f64 v[3:4], v[20:21], v[3:4]
	v_add_f64 v[1:2], v[22:23], v[1:2]
	s_add_i32 s42, s42, 64
	s_add_i32 s43, s43, -4
	v_add_co_u32_e32 v24, vcc, 64, v24
	s_cmp_eq_u32 s43, 0
	v_addc_co_u32_e32 v25, vcc, 0, v25, vcc
	v_add_f64 v[3:4], v[3:4], v[7:8]
	v_add_f64 v[1:2], v[1:2], v[5:6]
	;; [unrolled: 1-line block ×6, first 2 shown]
	s_cbranch_scc1 .LBB15_19
.LBB15_24:                              ;   Parent Loop BB15_5 Depth=1
                                        ;     Parent Loop BB15_21 Depth=2
                                        ; =>    This Inner Loop Header: Depth=3
	v_add_u32_e32 v13, s43, v34
	v_cmp_ne_u32_e32 vcc, s35, v13
	s_or_b64 s[30:31], s[22:23], vcc
                                        ; implicit-def: $vgpr3_vgpr4
	s_and_saveexec_b64 s[44:45], s[30:31]
	s_xor_b64 s[30:31], exec, s[44:45]
	s_cbranch_execz .LBB15_26
; %bb.25:                               ;   in Loop: Header=BB15_24 Depth=3
	flat_load_dwordx4 v[1:4], v[24:25]
	v_mov_b32_e32 v5, s42
	ds_read_b128 v[5:8], v5
	s_waitcnt vmcnt(0) lgkmcnt(0)
	v_mul_f64 v[9:10], v[3:4], v[7:8]
	v_mul_f64 v[7:8], v[1:2], v[7:8]
	v_fma_f64 v[1:2], v[1:2], v[5:6], -v[9:10]
	v_fma_f64 v[3:4], v[3:4], v[5:6], v[7:8]
.LBB15_26:                              ;   in Loop: Header=BB15_24 Depth=3
	s_andn2_saveexec_b64 s[30:31], s[30:31]
; %bb.27:                               ;   in Loop: Header=BB15_24 Depth=3
	v_mov_b32_e32 v1, s42
	ds_read_b128 v[1:4], v1
; %bb.28:                               ;   in Loop: Header=BB15_24 Depth=3
	s_or_b64 exec, exec, s[30:31]
	v_cmp_ne_u32_e32 vcc, s36, v13
	s_or_b64 s[30:31], s[22:23], vcc
                                        ; implicit-def: $vgpr7_vgpr8
	s_and_saveexec_b64 s[44:45], s[30:31]
	s_xor_b64 s[30:31], exec, s[44:45]
	s_cbranch_execz .LBB15_30
; %bb.29:                               ;   in Loop: Header=BB15_24 Depth=3
	flat_load_dwordx4 v[5:8], v[24:25] offset:16
	v_mov_b32_e32 v9, s42
	ds_read_b128 v[9:12], v9 offset:16
	s_waitcnt vmcnt(0) lgkmcnt(0)
	v_mul_f64 v[14:15], v[7:8], v[11:12]
	v_mul_f64 v[11:12], v[5:6], v[11:12]
	v_fma_f64 v[5:6], v[5:6], v[9:10], -v[14:15]
	v_fma_f64 v[7:8], v[7:8], v[9:10], v[11:12]
.LBB15_30:                              ;   in Loop: Header=BB15_24 Depth=3
	s_andn2_saveexec_b64 s[30:31], s[30:31]
; %bb.31:                               ;   in Loop: Header=BB15_24 Depth=3
	v_mov_b32_e32 v5, s42
	ds_read_b128 v[5:8], v5 offset:16
; %bb.32:                               ;   in Loop: Header=BB15_24 Depth=3
	s_or_b64 exec, exec, s[30:31]
	v_cmp_ne_u32_e32 vcc, s37, v13
	s_or_b64 s[30:31], s[22:23], vcc
                                        ; implicit-def: $vgpr11_vgpr12
	s_and_saveexec_b64 s[44:45], s[30:31]
	s_xor_b64 s[30:31], exec, s[44:45]
	s_cbranch_execz .LBB15_34
; %bb.33:                               ;   in Loop: Header=BB15_24 Depth=3
	flat_load_dwordx4 v[9:12], v[24:25] offset:32
	v_mov_b32_e32 v14, s42
	ds_read_b128 v[36:39], v14 offset:32
	s_waitcnt vmcnt(0) lgkmcnt(0)
	v_mul_f64 v[14:15], v[11:12], v[38:39]
	v_mul_f64 v[38:39], v[9:10], v[38:39]
	v_fma_f64 v[9:10], v[9:10], v[36:37], -v[14:15]
	v_fma_f64 v[11:12], v[11:12], v[36:37], v[38:39]
.LBB15_34:                              ;   in Loop: Header=BB15_24 Depth=3
	s_andn2_saveexec_b64 s[30:31], s[30:31]
; %bb.35:                               ;   in Loop: Header=BB15_24 Depth=3
	v_mov_b32_e32 v9, s42
	ds_read_b128 v[9:12], v9 offset:32
; %bb.36:                               ;   in Loop: Header=BB15_24 Depth=3
	s_or_b64 exec, exec, s[30:31]
	v_cmp_ne_u32_e32 vcc, s38, v13
	s_or_b64 s[30:31], s[22:23], vcc
                                        ; implicit-def: $vgpr15_vgpr16
	s_and_saveexec_b64 s[44:45], s[30:31]
	s_xor_b64 s[30:31], exec, s[44:45]
	s_cbranch_execz .LBB15_38
; %bb.37:                               ;   in Loop: Header=BB15_24 Depth=3
	flat_load_dwordx4 v[13:16], v[24:25] offset:48
	v_mov_b32_e32 v36, s42
	ds_read_b128 v[36:39], v36 offset:48
	s_waitcnt vmcnt(0) lgkmcnt(0)
	v_mul_f64 v[40:41], v[15:16], v[38:39]
	v_mul_f64 v[38:39], v[13:14], v[38:39]
	v_fma_f64 v[13:14], v[13:14], v[36:37], -v[40:41]
	v_fma_f64 v[15:16], v[15:16], v[36:37], v[38:39]
.LBB15_38:                              ;   in Loop: Header=BB15_24 Depth=3
	s_andn2_saveexec_b64 s[30:31], s[30:31]
	s_cbranch_execz .LBB15_23
; %bb.39:                               ;   in Loop: Header=BB15_24 Depth=3
	v_mov_b32_e32 v13, s42
	ds_read_b128 v[13:16], v13 offset:48
	s_branch .LBB15_23
.LBB15_40:                              ;   in Loop: Header=BB15_5 Depth=1
	s_or_b64 exec, exec, s[24:25]
.LBB15_41:                              ;   in Loop: Header=BB15_5 Depth=1
	s_and_saveexec_b64 s[24:25], s[0:1]
	s_cbranch_execz .LBB15_4
; %bb.42:                               ;   in Loop: Header=BB15_5 Depth=1
	v_mad_u64_u32 v[5:6], s[0:1], s10, v30, 0
	v_mov_b32_e32 v1, v6
	v_mad_u64_u32 v[6:7], s[0:1], s11, v30, v[1:2]
	ds_read2_b64 v[1:4], v26 offset1:1
	v_mov_b32_e32 v7, s58
	v_lshlrev_b64 v[5:6], 4, v[5:6]
	v_add_co_u32_e32 v5, vcc, s33, v5
	v_addc_co_u32_e32 v6, vcc, v7, v6, vcc
	s_waitcnt lgkmcnt(0)
	flat_store_dwordx4 v[5:6], v[1:4]
	s_branch .LBB15_4
.LBB15_43:
	s_mov_b64 s[0:1], 0
.LBB15_44:
	s_andn2_b64 vcc, exec, s[0:1]
	s_cbranch_vccnz .LBB15_81
; %bb.45:
	s_andn2_b64 vcc, exec, s[8:9]
	s_cbranch_vccnz .LBB15_81
; %bb.46:
	v_mov_b32_e32 v13, 0
	v_mov_b32_e32 v1, v13
	v_mad_u64_u32 v[14:15], s[0:1], v0, v0, v[0:1]
	v_lshlrev_b32_e32 v1, 10, v0
	v_add_co_u32_e32 v18, vcc, 0x40200, v1
	v_or_b32_e32 v12, 0x200, v0
	v_mov_b32_e32 v17, v13
	v_lshlrev_b32_e32 v24, 4, v0
	v_addc_co_u32_e64 v19, s[0:1], 0, 0, vcc
	s_mov_b32 s14, 0
	v_add_u32_e32 v25, 0x201, v0
	v_mov_b32_e32 v26, s7
	s_xor_b64 s[22:23], s[12:13], -1
	v_mov_b32_e32 v16, v12
	s_mov_b64 s[24:25], s[6:7]
	s_branch .LBB15_48
.LBB15_47:                              ;   in Loop: Header=BB15_48 Depth=1
	s_or_b64 exec, exec, s[4:5]
	v_add_co_u32_e32 v1, vcc, 0x80000, v18
	v_addc_co_u32_e32 v2, vcc, 0, v19, vcc
	v_add_co_u32_e32 v14, vcc, v14, v18
	v_addc_co_u32_e32 v15, vcc, v15, v19, vcc
	v_add_co_u32_e32 v16, vcc, 0x200, v16
	s_add_u32 s24, s24, 0x2000
	v_addc_co_u32_e32 v17, vcc, 0, v17, vcc
	v_mov_b32_e32 v19, v2
	s_addc_u32 s25, s25, 0
	v_add_u32_e32 v25, 0x200, v25
	s_and_b64 vcc, exec, s[2:3]
	v_mov_b32_e32 v18, v1
	s_mov_b32 s14, s34
	s_waitcnt vmcnt(0) lgkmcnt(0)
	s_barrier
	s_cbranch_vccnz .LBB15_81
.LBB15_48:                              ; =>This Loop Header: Depth=1
                                        ;     Child Loop BB15_52 Depth 2
                                        ;     Child Loop BB15_65 Depth 2
                                        ;       Child Loop BB15_68 Depth 3
	v_add_u32_e32 v27, s14, v0
	v_cmp_le_i32_e32 vcc, s15, v27
	v_cmp_gt_i32_e64 s[0:1], s15, v27
	s_and_saveexec_b64 s[4:5], s[0:1]
	s_cbranch_execz .LBB15_50
; %bb.49:                               ;   in Loop: Header=BB15_48 Depth=1
	v_mad_u64_u32 v[1:2], s[2:3], s10, v27, 0
	v_mad_u64_u32 v[2:3], s[2:3], s11, v27, v[2:3]
	v_mov_b32_e32 v3, s58
	v_lshlrev_b64 v[1:2], 4, v[1:2]
	v_add_co_u32_e64 v1, s[2:3], s33, v1
	v_addc_co_u32_e64 v2, s[2:3], v3, v2, s[2:3]
	flat_load_dwordx4 v[1:4], v[1:2]
	s_waitcnt vmcnt(0) lgkmcnt(0)
	ds_write2_b64 v24, v[1:2], v[3:4] offset1:1
.LBB15_50:                              ;   in Loop: Header=BB15_48 Depth=1
	s_or_b64 exec, exec, s[4:5]
	v_lshlrev_b64 v[1:2], 3, v[14:15]
	v_or_b32_e32 v12, s14, v0
	v_and_b32_e32 v1, -16, v1
	v_mov_b32_e32 v3, s25
	v_add_co_u32_e64 v20, s[2:3], s24, v1
	v_add_u32_e32 v1, 1, v12
	v_addc_co_u32_e64 v21, s[2:3], v3, v2, s[2:3]
	v_mad_u64_u32 v[1:2], s[2:3], v1, v12, 0
	v_lshlrev_b64 v[3:4], 4, v[12:13]
	v_cmp_le_i32_e64 s[2:3], s15, v12
	v_lshlrev_b64 v[1:2], 3, v[1:2]
	v_add_co_u32_e64 v3, s[4:5], s6, v3
	v_addc_co_u32_e64 v4, s[4:5], v26, v4, s[4:5]
	v_and_b32_e32 v1, -16, v1
	v_add_co_u32_e64 v22, s[4:5], v3, v1
	v_addc_co_u32_e64 v23, s[4:5], v4, v2, s[4:5]
	s_mov_b32 s30, 0
	s_xor_b64 s[4:5], vcc, -1
	s_mov_b32 s31, 0
	s_waitcnt lgkmcnt(0)
	s_barrier
	s_branch .LBB15_52
.LBB15_51:                              ;   in Loop: Header=BB15_52 Depth=2
	s_or_b64 exec, exec, s[26:27]
	s_add_i32 s31, s31, 1
	s_add_i32 s30, s30, 16
	v_add_co_u32_e32 v20, vcc, 16, v20
	s_cmpk_eq_i32 s31, 0x200
	v_addc_co_u32_e32 v21, vcc, 0, v21, vcc
	s_cbranch_scc1 .LBB15_61
.LBB15_52:                              ;   Parent Loop BB15_48 Depth=1
                                        ; =>  This Inner Loop Header: Depth=2
	v_cmp_ne_u32_e32 vcc, s31, v0
	s_or_b64 s[26:27], s[12:13], vcc
	s_nor_b64 s[28:29], s[26:27], s[2:3]
	s_and_saveexec_b64 s[26:27], s[28:29]
	s_cbranch_execz .LBB15_58
; %bb.53:                               ;   in Loop: Header=BB15_52 Depth=2
	flat_load_dwordx4 v[5:8], v[22:23]
	ds_read_b128 v[1:4], v24
                                        ; implicit-def: $vgpr9_vgpr10
	s_waitcnt vmcnt(0) lgkmcnt(0)
	v_cmp_ngt_f64_e64 s[28:29], |v[5:6]|, |v[7:8]|
	s_and_saveexec_b64 s[34:35], s[28:29]
	s_xor_b64 s[28:29], exec, s[34:35]
	s_cbranch_execz .LBB15_55
; %bb.54:                               ;   in Loop: Header=BB15_52 Depth=2
	v_div_scale_f64 v[9:10], s[34:35], v[7:8], v[7:8], v[5:6]
	v_rcp_f64_e32 v[11:12], v[9:10]
	v_fma_f64 v[28:29], -v[9:10], v[11:12], 1.0
	v_fma_f64 v[11:12], v[11:12], v[28:29], v[11:12]
	v_div_scale_f64 v[28:29], vcc, v[5:6], v[7:8], v[5:6]
	v_fma_f64 v[30:31], -v[9:10], v[11:12], 1.0
	v_fma_f64 v[11:12], v[11:12], v[30:31], v[11:12]
	v_mul_f64 v[30:31], v[28:29], v[11:12]
	v_fma_f64 v[9:10], -v[9:10], v[30:31], v[28:29]
	v_div_fmas_f64 v[9:10], v[9:10], v[11:12], v[30:31]
	v_div_fixup_f64 v[9:10], v[9:10], v[7:8], v[5:6]
	v_fma_f64 v[5:6], v[5:6], v[9:10], v[7:8]
	v_div_scale_f64 v[7:8], s[34:35], v[5:6], v[5:6], 1.0
	v_rcp_f64_e32 v[11:12], v[7:8]
	v_fma_f64 v[28:29], -v[7:8], v[11:12], 1.0
	v_fma_f64 v[11:12], v[11:12], v[28:29], v[11:12]
	v_div_scale_f64 v[28:29], vcc, 1.0, v[5:6], 1.0
	v_fma_f64 v[30:31], -v[7:8], v[11:12], 1.0
	v_fma_f64 v[11:12], v[11:12], v[30:31], v[11:12]
	v_mul_f64 v[30:31], v[28:29], v[11:12]
	v_fma_f64 v[7:8], -v[7:8], v[30:31], v[28:29]
	v_div_fmas_f64 v[7:8], v[7:8], v[11:12], v[30:31]
	v_fma_f64 v[11:12], v[9:10], v[1:2], v[3:4]
	v_fma_f64 v[1:2], v[9:10], v[3:4], -v[1:2]
	v_div_fixup_f64 v[5:6], v[7:8], v[5:6], 1.0
	v_mul_f64 v[9:10], v[11:12], v[5:6]
	v_mul_f64 v[11:12], v[5:6], v[1:2]
                                        ; implicit-def: $vgpr5_vgpr6
                                        ; implicit-def: $vgpr3_vgpr4
.LBB15_55:                              ;   in Loop: Header=BB15_52 Depth=2
	s_andn2_saveexec_b64 s[28:29], s[28:29]
	s_cbranch_execz .LBB15_57
; %bb.56:                               ;   in Loop: Header=BB15_52 Depth=2
	v_div_scale_f64 v[9:10], s[34:35], v[5:6], v[5:6], v[7:8]
	v_rcp_f64_e32 v[11:12], v[9:10]
	v_fma_f64 v[28:29], -v[9:10], v[11:12], 1.0
	v_fma_f64 v[11:12], v[11:12], v[28:29], v[11:12]
	v_div_scale_f64 v[28:29], vcc, v[7:8], v[5:6], v[7:8]
	v_fma_f64 v[30:31], -v[9:10], v[11:12], 1.0
	v_fma_f64 v[11:12], v[11:12], v[30:31], v[11:12]
	v_mul_f64 v[30:31], v[28:29], v[11:12]
	v_fma_f64 v[9:10], -v[9:10], v[30:31], v[28:29]
	v_div_fmas_f64 v[9:10], v[9:10], v[11:12], v[30:31]
	v_div_fixup_f64 v[9:10], v[9:10], v[5:6], v[7:8]
	v_fma_f64 v[5:6], v[7:8], v[9:10], v[5:6]
	v_div_scale_f64 v[7:8], s[34:35], v[5:6], v[5:6], 1.0
	v_rcp_f64_e32 v[11:12], v[7:8]
	v_fma_f64 v[28:29], -v[7:8], v[11:12], 1.0
	v_fma_f64 v[11:12], v[11:12], v[28:29], v[11:12]
	v_div_scale_f64 v[28:29], vcc, 1.0, v[5:6], 1.0
	v_fma_f64 v[30:31], -v[7:8], v[11:12], 1.0
	v_fma_f64 v[11:12], v[11:12], v[30:31], v[11:12]
	v_mul_f64 v[30:31], v[28:29], v[11:12]
	v_fma_f64 v[7:8], -v[7:8], v[30:31], v[28:29]
	v_div_fmas_f64 v[7:8], v[7:8], v[11:12], v[30:31]
	v_fma_f64 v[11:12], v[9:10], v[3:4], v[1:2]
	v_fma_f64 v[1:2], -v[9:10], v[1:2], v[3:4]
	v_div_fixup_f64 v[5:6], v[7:8], v[5:6], 1.0
	v_mul_f64 v[9:10], v[5:6], v[11:12]
	v_mul_f64 v[11:12], v[1:2], v[5:6]
.LBB15_57:                              ;   in Loop: Header=BB15_52 Depth=2
	s_or_b64 exec, exec, s[28:29]
	ds_write_b128 v24, v[9:12]
.LBB15_58:                              ;   in Loop: Header=BB15_52 Depth=2
	s_or_b64 exec, exec, s[26:27]
	v_cmp_lt_u32_e32 vcc, s31, v0
	s_waitcnt lgkmcnt(0)
	s_barrier
	s_and_saveexec_b64 s[26:27], vcc
	s_cbranch_execz .LBB15_51
; %bb.59:                               ;   in Loop: Header=BB15_52 Depth=2
	s_add_i32 s28, s14, s31
	s_cmp_lt_i32 s28, s15
	s_cselect_b64 s[28:29], -1, 0
	s_and_b64 s[28:29], s[4:5], s[28:29]
	s_and_b64 exec, exec, s[28:29]
	s_cbranch_execz .LBB15_51
; %bb.60:                               ;   in Loop: Header=BB15_52 Depth=2
	flat_load_dwordx4 v[1:4], v[20:21]
	v_mov_b32_e32 v5, s30
	ds_read_b128 v[5:8], v5
	s_waitcnt vmcnt(0) lgkmcnt(0)
	v_mul_f64 v[9:10], v[3:4], v[7:8]
	v_mul_f64 v[7:8], v[1:2], v[7:8]
	v_fma_f64 v[9:10], v[1:2], v[5:6], -v[9:10]
	v_fma_f64 v[5:6], v[3:4], v[5:6], v[7:8]
	ds_read_b128 v[1:4], v24
	s_waitcnt lgkmcnt(0)
	v_add_f64 v[1:2], v[1:2], -v[9:10]
	v_add_f64 v[3:4], v[3:4], -v[5:6]
	ds_write_b128 v24, v[1:4]
	s_branch .LBB15_51
.LBB15_61:                              ;   in Loop: Header=BB15_48 Depth=1
	s_add_i32 s34, s14, 0x200
	s_cmp_ge_i32 s34, s15
	s_cselect_b64 s[2:3], -1, 0
	s_and_b64 vcc, exec, s[2:3]
	s_waitcnt lgkmcnt(0)
	s_barrier
	s_cbranch_vccnz .LBB15_79
; %bb.62:                               ;   in Loop: Header=BB15_48 Depth=1
	v_mov_b32_e32 v1, v16
	s_mov_b64 s[4:5], 0
	v_mov_b32_e32 v9, v25
	v_mov_b32_e32 v2, v17
	;; [unrolled: 1-line block ×3, first 2 shown]
	s_mov_b32 s35, s34
                                        ; implicit-def: $sgpr26_sgpr27
	s_branch .LBB15_65
.LBB15_63:                              ;   in Loop: Header=BB15_65 Depth=2
	v_mad_u64_u32 v[7:8], s[30:31], s10, v11, 0
	s_addk_i32 s35, 0x200
	s_cmp_ge_i32 s35, s15
	v_mad_u64_u32 v[11:12], s[30:31], s11, v11, v[8:9]
	v_mov_b32_e32 v12, s58
	s_cselect_b64 s[30:31], -1, 0
	v_mov_b32_e32 v8, v11
	v_lshlrev_b64 v[7:8], 4, v[7:8]
	s_andn2_b64 s[26:27], s[26:27], exec
	v_add_co_u32_e32 v11, vcc, s33, v7
	v_addc_co_u32_e32 v12, vcc, v12, v8, vcc
	flat_load_dwordx4 v[20:23], v[11:12]
	v_add_co_u32_e32 v1, vcc, 0x200, v1
	s_and_b64 s[30:31], s[30:31], exec
	v_add_u32_e32 v9, 0x200, v9
	v_addc_co_u32_e32 v2, vcc, 0, v2, vcc
	s_or_b64 s[26:27], s[26:27], s[30:31]
	s_waitcnt vmcnt(0) lgkmcnt(0)
	v_add_f64 v[5:6], v[20:21], -v[5:6]
	v_add_f64 v[7:8], v[22:23], -v[3:4]
	flat_store_dwordx4 v[11:12], v[5:8]
.LBB15_64:                              ;   in Loop: Header=BB15_65 Depth=2
	s_or_b64 exec, exec, s[28:29]
	s_and_b64 s[28:29], exec, s[26:27]
	s_or_b64 s[4:5], s[28:29], s[4:5]
	s_andn2_b64 exec, exec, s[4:5]
	s_cbranch_execz .LBB15_78
.LBB15_65:                              ;   Parent Loop BB15_48 Depth=1
                                        ; =>  This Loop Header: Depth=2
                                        ;       Child Loop BB15_68 Depth 3
	v_add_u32_e32 v11, s35, v0
	v_cmp_gt_i32_e32 vcc, s15, v11
	s_or_b64 s[26:27], s[26:27], exec
	s_and_saveexec_b64 s[28:29], vcc
	s_cbranch_execz .LBB15_64
; %bb.66:                               ;   in Loop: Header=BB15_65 Depth=2
	v_mad_u64_u32 v[3:4], s[30:31], v1, v9, 0
	v_add_u32_e32 v12, 0x1ff, v10
	v_add_u32_e32 v10, 0x200, v10
	v_mad_u64_u32 v[4:5], s[30:31], v2, v9, v[4:5]
	v_mov_b32_e32 v5, s25
	s_mov_b32 s36, 0
	v_lshlrev_b64 v[3:4], 3, v[3:4]
	s_mov_b32 s37, 0
	v_and_b32_e32 v3, -16, v3
	v_add_co_u32_e32 v7, vcc, s24, v3
	v_addc_co_u32_e32 v8, vcc, v5, v4, vcc
	v_mov_b32_e32 v3, 0
	v_mov_b32_e32 v5, 0
	;; [unrolled: 1-line block ×4, first 2 shown]
	s_branch .LBB15_68
.LBB15_67:                              ;   in Loop: Header=BB15_68 Depth=3
	s_or_b64 exec, exec, s[30:31]
	s_add_i32 s37, s37, 2
	s_add_i32 s36, s36, 32
	v_add_co_u32_e32 v7, vcc, 32, v7
	s_cmpk_eq_i32 s37, 0x200
	v_addc_co_u32_e32 v8, vcc, 0, v8, vcc
	s_cbranch_scc1 .LBB15_63
.LBB15_68:                              ;   Parent Loop BB15_48 Depth=1
                                        ;     Parent Loop BB15_65 Depth=2
                                        ; =>    This Inner Loop Header: Depth=3
	v_cmp_ne_u32_e32 vcc, s37, v10
	s_add_i32 s38, s14, s37
	s_or_b64 s[30:31], s[22:23], vcc
	s_and_saveexec_b64 s[40:41], s[30:31]
	s_xor_b64 s[30:31], exec, s[40:41]
	s_cbranch_execz .LBB15_71
; %bb.69:                               ;   in Loop: Header=BB15_68 Depth=3
	s_cmp_ge_i32 s38, s15
	s_cbranch_scc1 .LBB15_71
; %bb.70:                               ;   in Loop: Header=BB15_68 Depth=3
	flat_load_dwordx4 v[20:23], v[7:8]
	v_mov_b32_e32 v28, s36
	ds_read_b128 v[28:31], v28
	s_waitcnt vmcnt(0) lgkmcnt(0)
	v_mul_f64 v[32:33], v[22:23], v[30:31]
	v_mul_f64 v[30:31], v[20:21], v[30:31]
	v_fma_f64 v[20:21], v[20:21], v[28:29], -v[32:33]
	v_fma_f64 v[22:23], v[22:23], v[28:29], v[30:31]
	v_add_f64 v[5:6], v[5:6], v[20:21]
	v_add_f64 v[3:4], v[3:4], v[22:23]
.LBB15_71:                              ;   in Loop: Header=BB15_68 Depth=3
	s_andn2_saveexec_b64 s[30:31], s[30:31]
	s_cbranch_execz .LBB15_73
; %bb.72:                               ;   in Loop: Header=BB15_68 Depth=3
	v_mov_b32_e32 v20, s36
	ds_read_b128 v[20:23], v20
	s_waitcnt lgkmcnt(0)
	v_add_f64 v[5:6], v[5:6], v[20:21]
	v_add_f64 v[3:4], v[3:4], v[22:23]
.LBB15_73:                              ;   in Loop: Header=BB15_68 Depth=3
	s_or_b64 exec, exec, s[30:31]
	v_cmp_ne_u32_e32 vcc, s37, v12
	s_or_b64 s[30:31], s[22:23], vcc
	s_and_saveexec_b64 s[40:41], s[30:31]
	s_xor_b64 s[30:31], exec, s[40:41]
	s_cbranch_execz .LBB15_76
; %bb.74:                               ;   in Loop: Header=BB15_68 Depth=3
	s_add_i32 s38, s38, 1
	s_cmp_ge_i32 s38, s15
	s_cbranch_scc1 .LBB15_76
; %bb.75:                               ;   in Loop: Header=BB15_68 Depth=3
	flat_load_dwordx4 v[20:23], v[7:8] offset:16
	v_mov_b32_e32 v28, s36
	ds_read_b128 v[28:31], v28 offset:16
	s_waitcnt vmcnt(0) lgkmcnt(0)
	v_mul_f64 v[32:33], v[22:23], v[30:31]
	v_mul_f64 v[30:31], v[20:21], v[30:31]
	v_fma_f64 v[20:21], v[20:21], v[28:29], -v[32:33]
	v_fma_f64 v[22:23], v[22:23], v[28:29], v[30:31]
	v_add_f64 v[5:6], v[5:6], v[20:21]
	v_add_f64 v[3:4], v[3:4], v[22:23]
.LBB15_76:                              ;   in Loop: Header=BB15_68 Depth=3
	s_andn2_saveexec_b64 s[30:31], s[30:31]
	s_cbranch_execz .LBB15_67
; %bb.77:                               ;   in Loop: Header=BB15_68 Depth=3
	v_mov_b32_e32 v20, s36
	ds_read_b128 v[20:23], v20 offset:16
	s_waitcnt lgkmcnt(0)
	v_add_f64 v[5:6], v[5:6], v[20:21]
	v_add_f64 v[3:4], v[3:4], v[22:23]
	s_branch .LBB15_67
.LBB15_78:                              ;   in Loop: Header=BB15_48 Depth=1
	s_or_b64 exec, exec, s[4:5]
.LBB15_79:                              ;   in Loop: Header=BB15_48 Depth=1
	s_and_saveexec_b64 s[4:5], s[0:1]
	s_cbranch_execz .LBB15_47
; %bb.80:                               ;   in Loop: Header=BB15_48 Depth=1
	v_mad_u64_u32 v[5:6], s[0:1], s10, v27, 0
	v_mov_b32_e32 v1, v6
	v_mad_u64_u32 v[6:7], s[0:1], s11, v27, v[1:2]
	ds_read2_b64 v[1:4], v24 offset1:1
	v_mov_b32_e32 v7, s58
	v_lshlrev_b64 v[5:6], 4, v[5:6]
	v_add_co_u32_e32 v5, vcc, s33, v5
	v_addc_co_u32_e32 v6, vcc, v7, v6, vcc
	s_waitcnt lgkmcnt(0)
	flat_store_dwordx4 v[5:6], v[1:4]
	s_branch .LBB15_47
.LBB15_81:
	s_mov_b64 s[0:1], 0
.LBB15_82:
	s_andn2_b64 vcc, exec, s[0:1]
	s_cbranch_vccnz .LBB15_156
; %bb.83:
	s_mov_b64 s[0:1], -1
	s_and_b64 vcc, exec, s[20:21]
	s_cbranch_vccz .LBB15_122
; %bb.84:
	s_andn2_b64 vcc, exec, s[8:9]
	s_cbranch_vccnz .LBB15_121
; %bb.85:
	s_lshl_b32 s20, s15, 1
	s_or_b32 s14, s20, 1
	s_ashr_i32 s21, s20, 31
	s_add_u32 s59, s16, s18
	s_addc_u32 s60, s17, s19
	s_lshl_b64 s[0:1], s[20:21], 9
	s_add_u32 s34, s0, 0xfffc0200
	s_addc_u32 s35, s1, -1
	s_add_u32 s28, s0, 0xfffbfe00
	s_addc_u32 s29, s1, -1
	s_lshl_b64 s[0:1], s[20:21], 1
	s_add_u32 s16, s0, -6
	v_lshlrev_b32_e32 v20, 4, v0
	s_addc_u32 s17, s1, -1
	v_mov_b32_e32 v2, s60
	v_add_co_u32_e32 v14, vcc, s59, v20
	s_add_u32 s18, s0, -2
	v_mov_b32_e32 v1, 0
	v_addc_co_u32_e32 v15, vcc, 0, v2, vcc
	v_or_b32_e32 v21, 0x200, v0
	s_addc_u32 s19, s1, -1
	s_mov_b64 s[22:23], -1
	s_mov_b64 s[24:25], 0
	v_mov_b32_e32 v22, s7
	s_mov_b64 s[26:27], 0
	s_mov_b64 s[30:31], s[20:21]
	;; [unrolled: 1-line block ×3, first 2 shown]
	s_branch .LBB15_87
.LBB15_86:                              ;   in Loop: Header=BB15_87 Depth=1
	s_or_b64 exec, exec, s[36:37]
	s_add_u32 s0, s34, 0xfff80000
	s_addc_u32 s1, s35, -1
	s_add_u32 s24, s24, s34
	s_addc_u32 s25, s25, s35
	s_add_u32 s30, s30, 0xfffffc00
	s_addc_u32 s31, s31, -1
	s_add_u32 s22, s22, 0xfffffe00
	s_addc_u32 s23, s23, -1
	s_add_u32 s34, s28, 0xfff80000
	s_addc_u32 s35, s29, -1
	s_add_u32 s20, s20, s28
	s_addc_u32 s21, s21, s29
	s_add_u32 s16, s16, 0xfffff800
	s_addc_u32 s17, s17, -1
	s_add_u32 s26, s26, 0xfffffe00
	s_addc_u32 s27, s27, -1
	s_add_u32 s18, s18, 0xfffff800
	v_add_u32_e32 v21, 0x200, v21
	s_addc_u32 s19, s19, -1
	s_and_b64 vcc, exec, s[4:5]
	s_mov_b64 s[28:29], s[34:35]
	s_mov_b64 s[34:35], s[0:1]
	;; [unrolled: 1-line block ×3, first 2 shown]
	s_waitcnt vmcnt(0) lgkmcnt(0)
	s_barrier
	s_cbranch_vccnz .LBB15_121
.LBB15_87:                              ; =>This Loop Header: Depth=1
                                        ;     Child Loop BB15_91 Depth 2
                                        ;     Child Loop BB15_104 Depth 2
                                        ;       Child Loop BB15_106 Depth 3
	v_add_u32_e32 v23, s36, v0
	v_cmp_le_i32_e32 vcc, s15, v23
	v_cmp_gt_i32_e64 s[0:1], s15, v23
	s_and_saveexec_b64 s[4:5], s[0:1]
	s_cbranch_execz .LBB15_89
; %bb.88:                               ;   in Loop: Header=BB15_87 Depth=1
	v_mad_u64_u32 v[2:3], s[2:3], s10, v23, 0
	v_mad_u64_u32 v[3:4], s[2:3], s11, v23, v[3:4]
	v_mov_b32_e32 v4, s58
	v_lshlrev_b64 v[2:3], 4, v[2:3]
	v_add_co_u32_e64 v2, s[2:3], s33, v2
	v_addc_co_u32_e64 v3, s[2:3], v4, v3, s[2:3]
	flat_load_dwordx4 v[2:5], v[2:3]
	s_waitcnt vmcnt(0) lgkmcnt(0)
	ds_write2_b64 v20, v[2:3], v[4:5] offset1:1
.LBB15_89:                              ;   in Loop: Header=BB15_87 Depth=1
	s_or_b64 exec, exec, s[4:5]
	v_or_b32_e32 v5, s36, v0
	v_sub_u32_e32 v4, s14, v5
	v_mad_u64_u32 v[2:3], s[2:3], v4, v5, 0
	v_ashrrev_i32_e32 v4, 31, v4
	v_mov_b32_e32 v19, v15
	v_mad_u64_u32 v[3:4], s[2:3], v4, v5, v[3:4]
	v_cmp_le_i32_e64 s[2:3], s15, v5
	s_mov_b32 s48, 0
	v_lshlrev_b64 v[2:3], 3, v[2:3]
	s_xor_b64 s[38:39], vcc, -1
	v_and_b32_e32 v2, -16, v2
	v_add_co_u32_e64 v16, s[4:5], s6, v2
	v_addc_co_u32_e64 v17, s[4:5], v22, v3, s[4:5]
	s_mov_b64 s[4:5], 0
	s_mov_b64 s[40:41], s[24:25]
	;; [unrolled: 1-line block ×3, first 2 shown]
	v_mov_b32_e32 v18, v14
	s_waitcnt lgkmcnt(0)
	s_barrier
	s_branch .LBB15_91
.LBB15_90:                              ;   in Loop: Header=BB15_91 Depth=2
	s_or_b64 exec, exec, s[44:45]
	s_add_u32 s4, s4, 1
	s_addc_u32 s5, s5, 0
	s_add_u32 s44, s42, -2
	s_addc_u32 s45, s43, -1
	s_add_u32 s40, s40, s42
	v_add_co_u32_e32 v18, vcc, -16, v18
	s_addc_u32 s41, s41, s43
	s_add_i32 s48, s48, 16
	v_addc_co_u32_e32 v19, vcc, -1, v19, vcc
	s_cmpk_eq_i32 s4, 0x200
	s_mov_b64 s[42:43], s[44:45]
	s_cbranch_scc1 .LBB15_100
.LBB15_91:                              ;   Parent Loop BB15_87 Depth=1
                                        ; =>  This Inner Loop Header: Depth=2
	v_cmp_ne_u32_e32 vcc, s4, v0
	s_or_b64 s[44:45], s[12:13], vcc
	s_nor_b64 s[46:47], s[44:45], s[2:3]
	s_and_saveexec_b64 s[44:45], s[46:47]
	s_cbranch_execz .LBB15_97
; %bb.92:                               ;   in Loop: Header=BB15_91 Depth=2
	flat_load_dwordx4 v[6:9], v[16:17]
	ds_read_b128 v[2:5], v20
                                        ; implicit-def: $vgpr10_vgpr11
	s_waitcnt vmcnt(0) lgkmcnt(0)
	v_cmp_ngt_f64_e64 s[46:47], |v[6:7]|, |v[8:9]|
	s_and_saveexec_b64 s[50:51], s[46:47]
	s_xor_b64 s[46:47], exec, s[50:51]
	s_cbranch_execz .LBB15_94
; %bb.93:                               ;   in Loop: Header=BB15_91 Depth=2
	v_div_scale_f64 v[10:11], s[50:51], v[8:9], v[8:9], v[6:7]
	v_rcp_f64_e32 v[12:13], v[10:11]
	v_fma_f64 v[24:25], -v[10:11], v[12:13], 1.0
	v_fma_f64 v[12:13], v[12:13], v[24:25], v[12:13]
	v_div_scale_f64 v[24:25], vcc, v[6:7], v[8:9], v[6:7]
	v_fma_f64 v[26:27], -v[10:11], v[12:13], 1.0
	v_fma_f64 v[12:13], v[12:13], v[26:27], v[12:13]
	v_mul_f64 v[26:27], v[24:25], v[12:13]
	v_fma_f64 v[10:11], -v[10:11], v[26:27], v[24:25]
	v_div_fmas_f64 v[10:11], v[10:11], v[12:13], v[26:27]
	v_div_fixup_f64 v[10:11], v[10:11], v[8:9], v[6:7]
	v_fma_f64 v[6:7], v[6:7], v[10:11], v[8:9]
	v_div_scale_f64 v[8:9], s[50:51], v[6:7], v[6:7], 1.0
	v_rcp_f64_e32 v[12:13], v[8:9]
	v_fma_f64 v[24:25], -v[8:9], v[12:13], 1.0
	v_fma_f64 v[12:13], v[12:13], v[24:25], v[12:13]
	v_div_scale_f64 v[24:25], vcc, 1.0, v[6:7], 1.0
	v_fma_f64 v[26:27], -v[8:9], v[12:13], 1.0
	v_fma_f64 v[12:13], v[12:13], v[26:27], v[12:13]
	v_mul_f64 v[26:27], v[24:25], v[12:13]
	v_fma_f64 v[8:9], -v[8:9], v[26:27], v[24:25]
	v_div_fmas_f64 v[8:9], v[8:9], v[12:13], v[26:27]
	v_fma_f64 v[12:13], v[10:11], v[2:3], v[4:5]
	v_fma_f64 v[2:3], v[10:11], v[4:5], -v[2:3]
	v_div_fixup_f64 v[6:7], v[8:9], v[6:7], 1.0
	v_mul_f64 v[10:11], v[12:13], v[6:7]
	v_mul_f64 v[12:13], v[6:7], v[2:3]
                                        ; implicit-def: $vgpr6_vgpr7
                                        ; implicit-def: $vgpr4_vgpr5
.LBB15_94:                              ;   in Loop: Header=BB15_91 Depth=2
	s_andn2_saveexec_b64 s[46:47], s[46:47]
	s_cbranch_execz .LBB15_96
; %bb.95:                               ;   in Loop: Header=BB15_91 Depth=2
	v_div_scale_f64 v[10:11], s[50:51], v[6:7], v[6:7], v[8:9]
	v_rcp_f64_e32 v[12:13], v[10:11]
	v_fma_f64 v[24:25], -v[10:11], v[12:13], 1.0
	v_fma_f64 v[12:13], v[12:13], v[24:25], v[12:13]
	v_div_scale_f64 v[24:25], vcc, v[8:9], v[6:7], v[8:9]
	v_fma_f64 v[26:27], -v[10:11], v[12:13], 1.0
	v_fma_f64 v[12:13], v[12:13], v[26:27], v[12:13]
	v_mul_f64 v[26:27], v[24:25], v[12:13]
	v_fma_f64 v[10:11], -v[10:11], v[26:27], v[24:25]
	v_div_fmas_f64 v[10:11], v[10:11], v[12:13], v[26:27]
	v_div_fixup_f64 v[10:11], v[10:11], v[6:7], v[8:9]
	v_fma_f64 v[6:7], v[8:9], v[10:11], v[6:7]
	v_div_scale_f64 v[8:9], s[50:51], v[6:7], v[6:7], 1.0
	v_rcp_f64_e32 v[12:13], v[8:9]
	v_fma_f64 v[24:25], -v[8:9], v[12:13], 1.0
	v_fma_f64 v[12:13], v[12:13], v[24:25], v[12:13]
	v_div_scale_f64 v[24:25], vcc, 1.0, v[6:7], 1.0
	v_fma_f64 v[26:27], -v[8:9], v[12:13], 1.0
	v_fma_f64 v[12:13], v[12:13], v[26:27], v[12:13]
	v_mul_f64 v[26:27], v[24:25], v[12:13]
	v_fma_f64 v[8:9], -v[8:9], v[26:27], v[24:25]
	v_div_fmas_f64 v[8:9], v[8:9], v[12:13], v[26:27]
	v_fma_f64 v[12:13], v[10:11], v[4:5], v[2:3]
	v_fma_f64 v[2:3], -v[10:11], v[2:3], v[4:5]
	v_div_fixup_f64 v[6:7], v[8:9], v[6:7], 1.0
	v_mul_f64 v[10:11], v[6:7], v[12:13]
	v_mul_f64 v[12:13], v[2:3], v[6:7]
.LBB15_96:                              ;   in Loop: Header=BB15_91 Depth=2
	s_or_b64 exec, exec, s[46:47]
	ds_write_b128 v20, v[10:13]
.LBB15_97:                              ;   in Loop: Header=BB15_91 Depth=2
	s_or_b64 exec, exec, s[44:45]
	v_cmp_lt_u32_e32 vcc, s4, v0
	s_waitcnt lgkmcnt(0)
	s_barrier
	s_and_saveexec_b64 s[44:45], vcc
	s_cbranch_execz .LBB15_90
; %bb.98:                               ;   in Loop: Header=BB15_91 Depth=2
	s_add_i32 s46, s36, s4
	s_cmp_lt_i32 s46, s15
	s_cselect_b64 s[46:47], -1, 0
	s_and_b64 s[46:47], s[38:39], s[46:47]
	s_and_b64 exec, exec, s[46:47]
	s_cbranch_execz .LBB15_90
; %bb.99:                               ;   in Loop: Header=BB15_91 Depth=2
	s_lshl_b64 s[46:47], s[40:41], 3
	s_and_b32 s46, s46, -16
	v_mov_b32_e32 v3, s47
	v_add_co_u32_e32 v2, vcc, s46, v18
	v_addc_co_u32_e32 v3, vcc, v19, v3, vcc
	flat_load_dwordx4 v[2:5], v[2:3]
	v_mov_b32_e32 v6, s48
	ds_read_b128 v[6:9], v6
	s_waitcnt vmcnt(0) lgkmcnt(0)
	v_mul_f64 v[10:11], v[4:5], v[8:9]
	v_mul_f64 v[8:9], v[2:3], v[8:9]
	v_fma_f64 v[10:11], v[2:3], v[6:7], -v[10:11]
	v_fma_f64 v[6:7], v[4:5], v[6:7], v[8:9]
	ds_read_b128 v[2:5], v20
	s_waitcnt lgkmcnt(0)
	v_add_f64 v[2:3], v[2:3], -v[10:11]
	v_add_f64 v[4:5], v[4:5], -v[6:7]
	ds_write_b128 v20, v[2:5]
	s_branch .LBB15_90
.LBB15_100:                             ;   in Loop: Header=BB15_87 Depth=1
	s_add_u32 s2, s36, 0x200
	s_addc_u32 s3, s37, 0
	s_cmp_ge_i32 s2, s15
	s_cselect_b64 s[4:5], -1, 0
	s_and_b64 vcc, exec, s[4:5]
	s_waitcnt lgkmcnt(0)
	s_barrier
	s_cbranch_vccnz .LBB15_119
; %bb.101:                              ;   in Loop: Header=BB15_87 Depth=1
	v_ashrrev_i32_e32 v5, 31, v21
	v_mov_b32_e32 v3, s23
	v_add_co_u32_e32 v2, vcc, s22, v21
	v_addc_co_u32_e32 v3, vcc, v3, v5, vcc
	v_lshlrev_b64 v[2:3], 4, v[2:3]
	v_mov_b32_e32 v6, s60
	v_add_co_u32_e32 v2, vcc, s59, v2
	v_addc_co_u32_e32 v3, vcc, v6, v3, vcc
	v_mov_b32_e32 v7, s27
	v_add_co_u32_e32 v4, vcc, s26, v21
	v_addc_co_u32_e32 v5, vcc, v7, v5, vcc
	v_lshlrev_b64 v[4:5], 4, v[4:5]
	s_mov_b32 s37, s2
	v_add_co_u32_e32 v4, vcc, s59, v4
	v_addc_co_u32_e32 v5, vcc, v6, v5, vcc
	v_mov_b32_e32 v7, v1
	s_mov_b64 s[38:39], 0
	v_mov_b32_e32 v6, v0
                                        ; implicit-def: $sgpr40_sgpr41
	s_branch .LBB15_104
.LBB15_102:                             ;   in Loop: Header=BB15_104 Depth=2
	v_mad_u64_u32 v[12:13], s[44:45], s10, v18, 0
	s_addk_i32 s37, 0x200
	s_cmp_ge_i32 s37, s15
	v_mad_u64_u32 v[16:17], s[44:45], s11, v18, v[13:14]
	v_mov_b32_e32 v17, s58
	s_cselect_b64 s[44:45], -1, 0
	v_mov_b32_e32 v13, v16
	v_lshlrev_b64 v[12:13], 4, v[12:13]
	s_andn2_b64 s[40:41], s[40:41], exec
	v_add_co_u32_e32 v24, vcc, s33, v12
	v_addc_co_u32_e32 v25, vcc, v17, v13, vcc
	flat_load_dwordx4 v[16:19], v[24:25]
	v_add_co_u32_e32 v2, vcc, 0x2000, v2
	v_addc_co_u32_e32 v3, vcc, 0, v3, vcc
	v_add_co_u32_e32 v4, vcc, 0x2000, v4
	s_and_b64 s[44:45], s[44:45], exec
	v_addc_co_u32_e32 v5, vcc, 0, v5, vcc
	s_or_b64 s[40:41], s[40:41], s[44:45]
	s_waitcnt vmcnt(0) lgkmcnt(0)
	v_add_f64 v[10:11], v[16:17], -v[10:11]
	v_add_f64 v[12:13], v[18:19], -v[8:9]
	flat_store_dwordx4 v[24:25], v[10:13]
.LBB15_103:                             ;   in Loop: Header=BB15_104 Depth=2
	s_or_b64 exec, exec, s[42:43]
	s_and_b64 s[42:43], exec, s[40:41]
	s_or_b64 s[38:39], s[42:43], s[38:39]
	s_andn2_b64 exec, exec, s[38:39]
	s_cbranch_execz .LBB15_118
.LBB15_104:                             ;   Parent Loop BB15_87 Depth=1
                                        ; =>  This Loop Header: Depth=2
                                        ;       Child Loop BB15_106 Depth 3
	v_add_u32_e32 v18, s37, v0
	v_cmp_gt_i32_e32 vcc, s15, v18
	s_or_b64 s[40:41], s[40:41], exec
	s_and_saveexec_b64 s[42:43], vcc
	s_cbranch_execz .LBB15_103
; %bb.105:                              ;   in Loop: Header=BB15_104 Depth=2
	v_add_co_u32_e32 v19, vcc, 0x1ff, v6
	v_add_co_u32_e32 v6, vcc, 0x200, v6
	v_mov_b32_e32 v8, 0
	v_mov_b32_e32 v13, v5
	;; [unrolled: 1-line block ×4, first 2 shown]
	v_addc_co_u32_e32 v7, vcc, 0, v7, vcc
	v_mov_b32_e32 v9, 0
	s_mov_b64 s[44:45], 0
	s_mov_b32 s61, 0
	s_mov_b64 s[46:47], s[24:25]
	s_mov_b64 s[50:51], s[18:19]
	v_mov_b32_e32 v12, v4
	s_mov_b64 s[48:49], s[20:21]
	s_mov_b64 s[52:53], s[16:17]
	v_mov_b32_e32 v11, 0
	v_mov_b32_e32 v16, v2
.LBB15_106:                             ;   Parent Loop BB15_87 Depth=1
                                        ;     Parent Loop BB15_104 Depth=2
                                        ; =>    This Inner Loop Header: Depth=3
	v_cmp_ne_u32_e32 vcc, s44, v6
	s_xor_b64 s[54:55], s[12:13], -1
	s_add_u32 s62, s36, s44
	s_or_b64 s[56:57], s[54:55], vcc
	s_and_saveexec_b64 s[64:65], s[56:57]
	s_xor_b64 s[56:57], exec, s[64:65]
	s_cbranch_execz .LBB15_109
; %bb.107:                              ;   in Loop: Header=BB15_106 Depth=3
	s_cmp_ge_i32 s62, s15
	s_cbranch_scc1 .LBB15_109
; %bb.108:                              ;   in Loop: Header=BB15_106 Depth=3
	s_lshl_b64 s[64:65], s[46:47], 3
	s_and_b32 s63, s64, -16
	v_mov_b32_e32 v25, s65
	v_add_co_u32_e32 v24, vcc, s63, v12
	v_addc_co_u32_e32 v25, vcc, v13, v25, vcc
	flat_load_dwordx4 v[24:27], v[24:25]
	v_mov_b32_e32 v28, s61
	ds_read_b128 v[28:31], v28
	s_waitcnt vmcnt(0) lgkmcnt(0)
	v_mul_f64 v[32:33], v[26:27], v[30:31]
	v_mul_f64 v[30:31], v[24:25], v[30:31]
	v_fma_f64 v[24:25], v[24:25], v[28:29], -v[32:33]
	v_fma_f64 v[26:27], v[26:27], v[28:29], v[30:31]
	v_add_f64 v[10:11], v[10:11], v[24:25]
	v_add_f64 v[8:9], v[8:9], v[26:27]
.LBB15_109:                             ;   in Loop: Header=BB15_106 Depth=3
	s_andn2_saveexec_b64 s[56:57], s[56:57]
	s_cbranch_execz .LBB15_111
; %bb.110:                              ;   in Loop: Header=BB15_106 Depth=3
	v_mov_b32_e32 v24, s61
	ds_read_b128 v[24:27], v24
	s_waitcnt lgkmcnt(0)
	v_add_f64 v[10:11], v[10:11], v[24:25]
	v_add_f64 v[8:9], v[8:9], v[26:27]
.LBB15_111:                             ;   in Loop: Header=BB15_106 Depth=3
	s_or_b64 exec, exec, s[56:57]
	v_cmp_ne_u32_e32 vcc, s44, v19
	s_or_b64 s[54:55], s[54:55], vcc
	s_and_saveexec_b64 s[56:57], s[54:55]
	s_xor_b64 s[54:55], exec, s[56:57]
	s_cbranch_execz .LBB15_114
; %bb.112:                              ;   in Loop: Header=BB15_106 Depth=3
	s_add_i32 s62, s62, 1
	s_cmp_ge_i32 s62, s15
	s_cbranch_scc1 .LBB15_114
; %bb.113:                              ;   in Loop: Header=BB15_106 Depth=3
	s_lshl_b64 s[56:57], s[48:49], 3
	s_and_b32 s56, s56, -16
	v_mov_b32_e32 v25, s57
	v_add_co_u32_e32 v24, vcc, s56, v16
	v_addc_co_u32_e32 v25, vcc, v17, v25, vcc
	flat_load_dwordx4 v[24:27], v[24:25]
	v_mov_b32_e32 v28, s61
	ds_read_b128 v[28:31], v28 offset:16
	s_waitcnt vmcnt(0) lgkmcnt(0)
	v_mul_f64 v[32:33], v[26:27], v[30:31]
	v_mul_f64 v[30:31], v[24:25], v[30:31]
	v_fma_f64 v[24:25], v[24:25], v[28:29], -v[32:33]
	v_fma_f64 v[26:27], v[26:27], v[28:29], v[30:31]
	v_add_f64 v[10:11], v[10:11], v[24:25]
	v_add_f64 v[8:9], v[8:9], v[26:27]
.LBB15_114:                             ;   in Loop: Header=BB15_106 Depth=3
	s_andn2_saveexec_b64 s[54:55], s[54:55]
	s_cbranch_execz .LBB15_116
; %bb.115:                              ;   in Loop: Header=BB15_106 Depth=3
	v_mov_b32_e32 v24, s61
	ds_read_b128 v[24:27], v24 offset:16
	s_waitcnt lgkmcnt(0)
	v_add_f64 v[10:11], v[10:11], v[24:25]
	v_add_f64 v[8:9], v[8:9], v[26:27]
.LBB15_116:                             ;   in Loop: Header=BB15_106 Depth=3
	s_or_b64 exec, exec, s[54:55]
	s_add_u32 s44, s44, 2
	s_addc_u32 s45, s45, 0
	s_add_u32 s54, s52, -8
	s_addc_u32 s55, s53, -1
	s_add_u32 s48, s48, s52
	s_addc_u32 s49, s49, s53
	s_add_i32 s61, s61, 32
	s_add_u32 s52, s50, -8
	v_add_co_u32_e32 v16, vcc, 0xffffffe0, v16
	s_addc_u32 s53, s51, -1
	v_addc_co_u32_e32 v17, vcc, -1, v17, vcc
	s_add_u32 s46, s46, s50
	v_add_co_u32_e32 v12, vcc, 0xffffffe0, v12
	s_addc_u32 s47, s47, s51
	s_cmpk_eq_i32 s44, 0x200
	v_addc_co_u32_e32 v13, vcc, -1, v13, vcc
	s_cbranch_scc1 .LBB15_102
; %bb.117:                              ;   in Loop: Header=BB15_106 Depth=3
	s_mov_b64 s[50:51], s[52:53]
	s_mov_b64 s[52:53], s[54:55]
	s_branch .LBB15_106
.LBB15_118:                             ;   in Loop: Header=BB15_87 Depth=1
	s_or_b64 exec, exec, s[38:39]
.LBB15_119:                             ;   in Loop: Header=BB15_87 Depth=1
	s_and_saveexec_b64 s[36:37], s[0:1]
	s_cbranch_execz .LBB15_86
; %bb.120:                              ;   in Loop: Header=BB15_87 Depth=1
	v_mad_u64_u32 v[6:7], s[0:1], s10, v23, 0
	v_mov_b32_e32 v2, v7
	v_mad_u64_u32 v[7:8], s[0:1], s11, v23, v[2:3]
	ds_read2_b64 v[2:5], v20 offset1:1
	v_mov_b32_e32 v8, s58
	v_lshlrev_b64 v[6:7], 4, v[6:7]
	v_add_co_u32_e32 v6, vcc, s33, v6
	v_addc_co_u32_e32 v7, vcc, v8, v7, vcc
	s_waitcnt lgkmcnt(0)
	flat_store_dwordx4 v[6:7], v[2:5]
	s_branch .LBB15_86
.LBB15_121:
	s_mov_b64 s[0:1], 0
.LBB15_122:
	s_andn2_b64 vcc, exec, s[0:1]
	s_cbranch_vccnz .LBB15_156
; %bb.123:
	s_andn2_b64 vcc, exec, s[8:9]
	s_cbranch_vccnz .LBB15_156
; %bb.124:
	v_mov_b32_e32 v1, 0x2000
	v_mov_b32_e32 v14, 0
	s_add_i32 s28, s15, 0xfffffe00
	v_lshl_or_b32 v20, v0, 4, v1
	s_mov_b32 s26, 0
	s_mov_b32 s27, s15
	v_mov_b32_e32 v1, v14
	v_mov_b32_e32 v21, s7
	s_xor_b64 s[4:5], s[12:13], -1
	s_branch .LBB15_126
.LBB15_125:                             ;   in Loop: Header=BB15_126 Depth=1
	s_or_b64 exec, exec, s[8:9]
	s_add_u32 s27, s27, 0xfffffe00
	s_addc_u32 s26, s26, -1
	s_and_b64 vcc, exec, s[2:3]
	s_mov_b32 s28, s29
	s_waitcnt vmcnt(0) lgkmcnt(0)
	s_barrier
	s_cbranch_vccnz .LBB15_156
.LBB15_126:                             ; =>This Loop Header: Depth=1
                                        ;     Child Loop BB15_130 Depth 2
                                        ;     Child Loop BB15_142 Depth 2
                                        ;       Child Loop BB15_145 Depth 3
	v_add_u32_e32 v15, s28, v0
	v_cmp_gt_i32_e32 vcc, 0, v15
	v_cmp_lt_i32_e64 s[0:1], -1, v15
	v_mov_b32_e32 v16, v14
	s_and_saveexec_b64 s[8:9], s[0:1]
	s_cbranch_execz .LBB15_128
; %bb.127:                              ;   in Loop: Header=BB15_126 Depth=1
	v_mad_u64_u32 v[2:3], s[2:3], s10, v15, 0
	v_mad_u64_u32 v[3:4], s[2:3], s11, v15, v[3:4]
	v_mov_b32_e32 v4, s58
	v_lshlrev_b64 v[2:3], 4, v[2:3]
	v_add_co_u32_e64 v2, s[2:3], s33, v2
	v_addc_co_u32_e64 v3, s[2:3], v4, v3, s[2:3]
	flat_load_dwordx4 v[2:5], v[2:3]
	s_waitcnt vmcnt(0) lgkmcnt(0)
	ds_write2_b64 v20, v[2:3], v[4:5] offset1:1
.LBB15_128:                             ;   in Loop: Header=BB15_126 Depth=1
	s_or_b64 exec, exec, s[8:9]
	v_add_u32_e32 v4, 1, v15
	v_mad_u64_u32 v[4:5], s[2:3], v15, v4, 0
	v_lshlrev_b64 v[6:7], 4, v[15:16]
	v_ashrrev_i32_e32 v3, 31, v15
	v_mov_b32_e32 v2, v15
	v_add_co_u32_e64 v6, s[2:3], s6, v6
	v_lshlrev_b64 v[2:3], 4, v[2:3]
	v_addc_co_u32_e64 v7, s[2:3], v21, v7, s[2:3]
	v_lshlrev_b64 v[4:5], 3, v[4:5]
	v_add_co_u32_e64 v18, s[2:3], s6, v2
	v_addc_co_u32_e64 v19, s[2:3], v21, v3, s[2:3]
	v_and_b32_e32 v2, -16, v4
	v_add_co_u32_e64 v16, s[2:3], v6, v2
	v_addc_co_u32_e64 v17, s[2:3], v7, v5, s[2:3]
	s_or_b64 s[2:3], s[12:13], vcc
	s_movk_i32 s16, 0x1ff
	s_movk_i32 s17, 0x3ff0
	s_xor_b64 s[8:9], s[2:3], -1
	s_waitcnt lgkmcnt(0)
	s_barrier
	s_branch .LBB15_130
.LBB15_129:                             ;   in Loop: Header=BB15_130 Depth=2
	s_or_b64 exec, exec, s[2:3]
	s_add_i32 s16, s16, -1
	s_add_i32 s17, s17, -16
	s_cmp_eq_u32 s16, -1
	s_cbranch_scc1 .LBB15_138
.LBB15_130:                             ;   Parent Loop BB15_126 Depth=1
                                        ; =>  This Inner Loop Header: Depth=2
	v_cmp_eq_u32_e32 vcc, s16, v0
	s_and_b64 s[14:15], vcc, s[8:9]
	s_and_saveexec_b64 s[2:3], s[14:15]
	s_cbranch_execz .LBB15_136
; %bb.131:                              ;   in Loop: Header=BB15_130 Depth=2
	flat_load_dwordx4 v[6:9], v[16:17]
	ds_read_b128 v[2:5], v20
                                        ; implicit-def: $vgpr10_vgpr11
	s_waitcnt vmcnt(0) lgkmcnt(0)
	v_cmp_ngt_f64_e64 s[14:15], |v[6:7]|, |v[8:9]|
	s_and_saveexec_b64 s[18:19], s[14:15]
	s_xor_b64 s[14:15], exec, s[18:19]
	s_cbranch_execz .LBB15_133
; %bb.132:                              ;   in Loop: Header=BB15_130 Depth=2
	v_div_scale_f64 v[10:11], s[18:19], v[8:9], v[8:9], v[6:7]
	v_rcp_f64_e32 v[12:13], v[10:11]
	v_fma_f64 v[22:23], -v[10:11], v[12:13], 1.0
	v_fma_f64 v[12:13], v[12:13], v[22:23], v[12:13]
	v_div_scale_f64 v[22:23], vcc, v[6:7], v[8:9], v[6:7]
	v_fma_f64 v[24:25], -v[10:11], v[12:13], 1.0
	v_fma_f64 v[12:13], v[12:13], v[24:25], v[12:13]
	v_mul_f64 v[24:25], v[22:23], v[12:13]
	v_fma_f64 v[10:11], -v[10:11], v[24:25], v[22:23]
	v_div_fmas_f64 v[10:11], v[10:11], v[12:13], v[24:25]
	v_div_fixup_f64 v[10:11], v[10:11], v[8:9], v[6:7]
	v_fma_f64 v[6:7], v[6:7], v[10:11], v[8:9]
	v_div_scale_f64 v[8:9], s[18:19], v[6:7], v[6:7], 1.0
	v_rcp_f64_e32 v[12:13], v[8:9]
	v_fma_f64 v[22:23], -v[8:9], v[12:13], 1.0
	v_fma_f64 v[12:13], v[12:13], v[22:23], v[12:13]
	v_div_scale_f64 v[22:23], vcc, 1.0, v[6:7], 1.0
	v_fma_f64 v[24:25], -v[8:9], v[12:13], 1.0
	v_fma_f64 v[12:13], v[12:13], v[24:25], v[12:13]
	v_mul_f64 v[24:25], v[22:23], v[12:13]
	v_fma_f64 v[8:9], -v[8:9], v[24:25], v[22:23]
	v_div_fmas_f64 v[8:9], v[8:9], v[12:13], v[24:25]
	v_fma_f64 v[12:13], v[10:11], v[2:3], v[4:5]
	v_fma_f64 v[2:3], v[10:11], v[4:5], -v[2:3]
	v_div_fixup_f64 v[6:7], v[8:9], v[6:7], 1.0
	v_mul_f64 v[10:11], v[12:13], v[6:7]
	v_mul_f64 v[12:13], v[6:7], v[2:3]
                                        ; implicit-def: $vgpr6_vgpr7
                                        ; implicit-def: $vgpr4_vgpr5
.LBB15_133:                             ;   in Loop: Header=BB15_130 Depth=2
	s_andn2_saveexec_b64 s[14:15], s[14:15]
	s_cbranch_execz .LBB15_135
; %bb.134:                              ;   in Loop: Header=BB15_130 Depth=2
	v_div_scale_f64 v[10:11], s[18:19], v[6:7], v[6:7], v[8:9]
	v_rcp_f64_e32 v[12:13], v[10:11]
	v_fma_f64 v[22:23], -v[10:11], v[12:13], 1.0
	v_fma_f64 v[12:13], v[12:13], v[22:23], v[12:13]
	v_div_scale_f64 v[22:23], vcc, v[8:9], v[6:7], v[8:9]
	v_fma_f64 v[24:25], -v[10:11], v[12:13], 1.0
	v_fma_f64 v[12:13], v[12:13], v[24:25], v[12:13]
	v_mul_f64 v[24:25], v[22:23], v[12:13]
	v_fma_f64 v[10:11], -v[10:11], v[24:25], v[22:23]
	v_div_fmas_f64 v[10:11], v[10:11], v[12:13], v[24:25]
	v_div_fixup_f64 v[10:11], v[10:11], v[6:7], v[8:9]
	v_fma_f64 v[6:7], v[8:9], v[10:11], v[6:7]
	v_div_scale_f64 v[8:9], s[18:19], v[6:7], v[6:7], 1.0
	v_rcp_f64_e32 v[12:13], v[8:9]
	v_fma_f64 v[22:23], -v[8:9], v[12:13], 1.0
	v_fma_f64 v[12:13], v[12:13], v[22:23], v[12:13]
	v_div_scale_f64 v[22:23], vcc, 1.0, v[6:7], 1.0
	v_fma_f64 v[24:25], -v[8:9], v[12:13], 1.0
	v_fma_f64 v[12:13], v[12:13], v[24:25], v[12:13]
	v_mul_f64 v[24:25], v[22:23], v[12:13]
	v_fma_f64 v[8:9], -v[8:9], v[24:25], v[22:23]
	v_div_fmas_f64 v[8:9], v[8:9], v[12:13], v[24:25]
	v_fma_f64 v[12:13], v[10:11], v[4:5], v[2:3]
	v_fma_f64 v[2:3], -v[10:11], v[2:3], v[4:5]
	v_div_fixup_f64 v[6:7], v[8:9], v[6:7], 1.0
	v_mul_f64 v[10:11], v[6:7], v[12:13]
	v_mul_f64 v[12:13], v[2:3], v[6:7]
.LBB15_135:                             ;   in Loop: Header=BB15_130 Depth=2
	s_or_b64 exec, exec, s[14:15]
	ds_write_b128 v20, v[10:13]
.LBB15_136:                             ;   in Loop: Header=BB15_130 Depth=2
	s_or_b64 exec, exec, s[2:3]
	s_add_i32 s15, s27, s16
	s_add_i32 s14, s15, 0xfffffe00
	v_or_b32_e32 v2, s14, v15
	v_cmp_gt_u32_e32 vcc, s16, v0
	v_cmp_lt_i32_e64 s[2:3], -1, v2
	s_and_b64 s[18:19], vcc, s[2:3]
	s_waitcnt lgkmcnt(0)
	s_barrier
	s_and_saveexec_b64 s[2:3], s[18:19]
	s_cbranch_execz .LBB15_129
; %bb.137:                              ;   in Loop: Header=BB15_130 Depth=2
	s_add_i32 s18, s15, 0xfffffe01
	s_mul_hi_u32 s15, s18, s14
	s_mul_i32 s14, s18, s14
	s_lshl_b64 s[14:15], s[14:15], 3
	s_and_b32 s14, s14, -16
	v_mov_b32_e32 v3, s15
	v_add_co_u32_e32 v2, vcc, s14, v18
	v_addc_co_u32_e32 v3, vcc, v19, v3, vcc
	flat_load_dwordx4 v[2:5], v[2:3]
	v_mov_b32_e32 v6, s17
	ds_read_b128 v[6:9], v6
	s_waitcnt vmcnt(0) lgkmcnt(0)
	v_mul_f64 v[10:11], v[4:5], v[8:9]
	v_mul_f64 v[8:9], v[2:3], v[8:9]
	v_fma_f64 v[10:11], v[2:3], v[6:7], -v[10:11]
	v_fma_f64 v[6:7], v[4:5], v[6:7], v[8:9]
	ds_read_b128 v[2:5], v20
	s_waitcnt lgkmcnt(0)
	v_add_f64 v[2:3], v[2:3], -v[10:11]
	v_add_f64 v[4:5], v[4:5], -v[6:7]
	ds_write_b128 v20, v[2:5]
	s_branch .LBB15_129
.LBB15_138:                             ;   in Loop: Header=BB15_126 Depth=1
	s_add_i32 s29, s28, 0xfffffe00
	s_cmp_lt_i32 s28, 1
	s_cselect_b64 s[2:3], -1, 0
	s_and_b64 vcc, exec, s[2:3]
	s_waitcnt lgkmcnt(0)
	s_barrier
	s_cbranch_vccnz .LBB15_154
; %bb.139:                              ;   in Loop: Header=BB15_126 Depth=1
	v_mov_b32_e32 v11, v1
	s_mov_b64 s[8:9], 0
	v_mov_b32_e32 v10, v0
	s_mov_b32 s30, s29
                                        ; implicit-def: $sgpr14_sgpr15
	s_branch .LBB15_142
.LBB15_140:                             ;   in Loop: Header=BB15_142 Depth=2
	v_mad_u64_u32 v[2:3], s[18:19], s10, v13, 0
	s_add_i32 s20, s30, 0xfffffe00
	s_cmp_lt_i32 s30, 1
	v_mad_u64_u32 v[3:4], s[18:19], s11, v13, v[3:4]
	v_mov_b32_e32 v4, s58
	s_cselect_b64 s[18:19], -1, 0
	v_lshlrev_b64 v[2:3], 4, v[2:3]
	s_andn2_b64 s[14:15], s[14:15], exec
	v_add_co_u32_e32 v6, vcc, s33, v2
	v_addc_co_u32_e32 v7, vcc, v4, v3, vcc
	flat_load_dwordx4 v[2:5], v[6:7]
	v_add_co_u32_e32 v10, vcc, 0xfffffe00, v10
	s_and_b64 s[18:19], s[18:19], exec
	v_addc_co_u32_e32 v11, vcc, -1, v11, vcc
	s_or_b64 s[14:15], s[14:15], s[18:19]
	s_mov_b32 s30, s20
	s_waitcnt vmcnt(0) lgkmcnt(0)
	v_add_f64 v[2:3], v[2:3], -v[18:19]
	v_add_f64 v[4:5], v[4:5], -v[16:17]
	flat_store_dwordx4 v[6:7], v[2:5]
.LBB15_141:                             ;   in Loop: Header=BB15_142 Depth=2
	s_or_b64 exec, exec, s[16:17]
	s_and_b64 s[16:17], exec, s[14:15]
	s_or_b64 s[8:9], s[16:17], s[8:9]
	s_andn2_b64 exec, exec, s[8:9]
	s_cbranch_execz .LBB15_153
.LBB15_142:                             ;   Parent Loop BB15_126 Depth=1
                                        ; =>  This Loop Header: Depth=2
                                        ;       Child Loop BB15_145 Depth 3
	v_add_u32_e32 v13, s30, v0
	v_cmp_lt_i32_e32 vcc, -1, v13
	s_or_b64 s[14:15], s[14:15], exec
	s_and_saveexec_b64 s[16:17], vcc
	s_cbranch_execz .LBB15_141
; %bb.143:                              ;   in Loop: Header=BB15_142 Depth=2
	v_lshlrev_b64 v[2:3], 4, v[13:14]
	v_mov_b32_e32 v4, s7
	v_add_co_u32_e32 v12, vcc, s6, v2
	v_mov_b32_e32 v16, 0
	v_mov_b32_e32 v18, 0
	v_addc_co_u32_e32 v22, vcc, v4, v3, vcc
	v_add_co_u32_e32 v23, vcc, 0xfffffdff, v10
	v_add_co_u32_e32 v24, vcc, 0xfffffe00, v10
	v_mov_b32_e32 v17, 0
	s_movk_i32 s31, 0x2000
	v_mov_b32_e32 v19, 0
	s_mov_b64 s[18:19], 0
	s_branch .LBB15_145
.LBB15_144:                             ;   in Loop: Header=BB15_145 Depth=3
	s_or_b64 exec, exec, s[20:21]
	s_waitcnt lgkmcnt(0)
	v_add_f64 v[4:5], v[16:17], v[4:5]
	v_add_f64 v[2:3], v[18:19], v[2:3]
	s_add_i32 s31, s31, 32
	s_add_u32 s18, s18, 2
	s_addc_u32 s19, s19, 0
	s_cmpk_eq_i32 s18, 0x200
	v_add_f64 v[16:17], v[4:5], v[8:9]
	v_add_f64 v[18:19], v[2:3], v[6:7]
	s_cbranch_scc1 .LBB15_140
.LBB15_145:                             ;   Parent Loop BB15_126 Depth=1
                                        ;     Parent Loop BB15_142 Depth=2
                                        ; =>    This Inner Loop Header: Depth=3
	v_cmp_ne_u32_e32 vcc, s18, v24
	s_or_b64 s[24:25], s[4:5], vcc
                                        ; implicit-def: $vgpr4_vgpr5
                                        ; implicit-def: $sgpr20_sgpr21
                                        ; implicit-def: $sgpr22_sgpr23
	s_and_saveexec_b64 s[34:35], s[24:25]
	s_xor_b64 s[24:25], exec, s[34:35]
	s_cbranch_execz .LBB15_147
; %bb.146:                              ;   in Loop: Header=BB15_145 Depth=3
	s_add_u32 s20, s27, s18
	s_addc_u32 s21, s26, s19
	s_add_u32 s22, s20, 0xfffffe01
	s_addc_u32 s23, s21, 0
	;; [unrolled: 2-line block ×3, first 2 shown]
	s_mul_i32 s35, s22, s35
	s_mul_hi_u32 s36, s22, s34
	s_add_i32 s35, s36, s35
	s_mul_i32 s34, s22, s34
	s_lshl_b64 s[34:35], s[34:35], 3
	s_and_b32 s34, s34, -16
	v_mov_b32_e32 v3, s35
	v_add_co_u32_e32 v2, vcc, s34, v12
	v_addc_co_u32_e32 v3, vcc, v22, v3, vcc
	flat_load_dwordx4 v[2:5], v[2:3]
	v_mov_b32_e32 v6, s31
	ds_read_b128 v[6:9], v6
	s_waitcnt vmcnt(0) lgkmcnt(0)
	v_mul_f64 v[25:26], v[4:5], v[8:9]
	v_mul_f64 v[8:9], v[2:3], v[8:9]
	v_fma_f64 v[2:3], v[2:3], v[6:7], -v[25:26]
	v_fma_f64 v[4:5], v[4:5], v[6:7], v[8:9]
.LBB15_147:                             ;   in Loop: Header=BB15_145 Depth=3
	s_or_saveexec_b64 s[24:25], s[24:25]
	v_mov_b32_e32 v6, s22
	v_mov_b32_e32 v7, s23
	;; [unrolled: 1-line block ×4, first 2 shown]
	s_xor_b64 exec, exec, s[24:25]
	s_cbranch_execz .LBB15_149
; %bb.148:                              ;   in Loop: Header=BB15_145 Depth=3
	v_mov_b32_e32 v2, s31
	s_add_u32 s20, s27, s18
	ds_read_b128 v[2:5], v2
	s_addc_u32 s21, s26, s19
	s_add_u32 s22, s20, 0xfffffe01
	s_addc_u32 s23, s21, 0
	v_mov_b32_e32 v6, s22
	v_mov_b32_e32 v7, s23
	;; [unrolled: 1-line block ×4, first 2 shown]
.LBB15_149:                             ;   in Loop: Header=BB15_145 Depth=3
	s_or_b64 exec, exec, s[24:25]
	v_cmp_ne_u32_e32 vcc, s18, v23
	s_or_b64 s[20:21], s[4:5], vcc
                                        ; implicit-def: $vgpr8_vgpr9
	s_and_saveexec_b64 s[22:23], s[20:21]
	s_xor_b64 s[20:21], exec, s[22:23]
	s_cbranch_execz .LBB15_151
; %bb.150:                              ;   in Loop: Header=BB15_145 Depth=3
	v_add_u32_e32 v7, 0xfffffe02, v7
	v_mad_u64_u32 v[6:7], s[22:23], v7, v6, 0
	v_mov_b32_e32 v25, s31
	ds_read_b128 v[25:28], v25 offset:16
	v_lshlrev_b64 v[6:7], 3, v[6:7]
	v_and_b32_e32 v6, -16, v6
	v_add_co_u32_e32 v6, vcc, v12, v6
	v_addc_co_u32_e32 v7, vcc, v22, v7, vcc
	flat_load_dwordx4 v[6:9], v[6:7]
	s_waitcnt vmcnt(0) lgkmcnt(0)
	v_mul_f64 v[29:30], v[8:9], v[27:28]
	v_mul_f64 v[27:28], v[6:7], v[27:28]
	v_fma_f64 v[6:7], v[6:7], v[25:26], -v[29:30]
	v_fma_f64 v[8:9], v[8:9], v[25:26], v[27:28]
.LBB15_151:                             ;   in Loop: Header=BB15_145 Depth=3
	s_andn2_saveexec_b64 s[20:21], s[20:21]
	s_cbranch_execz .LBB15_144
; %bb.152:                              ;   in Loop: Header=BB15_145 Depth=3
	v_mov_b32_e32 v6, s31
	ds_read_b128 v[6:9], v6 offset:16
	s_branch .LBB15_144
.LBB15_153:                             ;   in Loop: Header=BB15_126 Depth=1
	s_or_b64 exec, exec, s[8:9]
.LBB15_154:                             ;   in Loop: Header=BB15_126 Depth=1
	s_and_saveexec_b64 s[8:9], s[0:1]
	s_cbranch_execz .LBB15_125
; %bb.155:                              ;   in Loop: Header=BB15_126 Depth=1
	v_mad_u64_u32 v[6:7], s[0:1], s10, v15, 0
	v_mov_b32_e32 v2, v7
	v_mad_u64_u32 v[7:8], s[0:1], s11, v15, v[2:3]
	ds_read2_b64 v[2:5], v20 offset1:1
	v_mov_b32_e32 v8, s58
	v_lshlrev_b64 v[6:7], 4, v[6:7]
	v_add_co_u32_e32 v6, vcc, s33, v6
	v_addc_co_u32_e32 v7, vcc, v8, v7, vcc
	s_waitcnt lgkmcnt(0)
	flat_store_dwordx4 v[6:7], v[2:5]
	s_branch .LBB15_125
.LBB15_156:
	s_endpgm
	.section	.rodata,"a",@progbits
	.p2align	6, 0x0
	.amdhsa_kernel _ZL19rocblas_tpsv_kernelILb0ELi512EPKPK19rocblas_complex_numIdEPKPS1_Ev18rocblas_operation_bbiT1_llT2_lll
		.amdhsa_group_segment_fixed_size 16384
		.amdhsa_private_segment_fixed_size 0
		.amdhsa_kernarg_size 72
		.amdhsa_user_sgpr_count 6
		.amdhsa_user_sgpr_private_segment_buffer 1
		.amdhsa_user_sgpr_dispatch_ptr 0
		.amdhsa_user_sgpr_queue_ptr 0
		.amdhsa_user_sgpr_kernarg_segment_ptr 1
		.amdhsa_user_sgpr_dispatch_id 0
		.amdhsa_user_sgpr_flat_scratch_init 0
		.amdhsa_user_sgpr_private_segment_size 0
		.amdhsa_uses_dynamic_stack 0
		.amdhsa_system_sgpr_private_segment_wavefront_offset 0
		.amdhsa_system_sgpr_workgroup_id_x 1
		.amdhsa_system_sgpr_workgroup_id_y 0
		.amdhsa_system_sgpr_workgroup_id_z 0
		.amdhsa_system_sgpr_workgroup_info 0
		.amdhsa_system_vgpr_workitem_id 0
		.amdhsa_next_free_vgpr 42
		.amdhsa_next_free_sgpr 66
		.amdhsa_reserve_vcc 1
		.amdhsa_reserve_flat_scratch 0
		.amdhsa_float_round_mode_32 0
		.amdhsa_float_round_mode_16_64 0
		.amdhsa_float_denorm_mode_32 3
		.amdhsa_float_denorm_mode_16_64 3
		.amdhsa_dx10_clamp 1
		.amdhsa_ieee_mode 1
		.amdhsa_fp16_overflow 0
		.amdhsa_exception_fp_ieee_invalid_op 0
		.amdhsa_exception_fp_denorm_src 0
		.amdhsa_exception_fp_ieee_div_zero 0
		.amdhsa_exception_fp_ieee_overflow 0
		.amdhsa_exception_fp_ieee_underflow 0
		.amdhsa_exception_fp_ieee_inexact 0
		.amdhsa_exception_int_div_zero 0
	.end_amdhsa_kernel
	.section	.text._ZL19rocblas_tpsv_kernelILb0ELi512EPKPK19rocblas_complex_numIdEPKPS1_Ev18rocblas_operation_bbiT1_llT2_lll,"axG",@progbits,_ZL19rocblas_tpsv_kernelILb0ELi512EPKPK19rocblas_complex_numIdEPKPS1_Ev18rocblas_operation_bbiT1_llT2_lll,comdat
.Lfunc_end15:
	.size	_ZL19rocblas_tpsv_kernelILb0ELi512EPKPK19rocblas_complex_numIdEPKPS1_Ev18rocblas_operation_bbiT1_llT2_lll, .Lfunc_end15-_ZL19rocblas_tpsv_kernelILb0ELi512EPKPK19rocblas_complex_numIdEPKPS1_Ev18rocblas_operation_bbiT1_llT2_lll
                                        ; -- End function
	.set _ZL19rocblas_tpsv_kernelILb0ELi512EPKPK19rocblas_complex_numIdEPKPS1_Ev18rocblas_operation_bbiT1_llT2_lll.num_vgpr, 42
	.set _ZL19rocblas_tpsv_kernelILb0ELi512EPKPK19rocblas_complex_numIdEPKPS1_Ev18rocblas_operation_bbiT1_llT2_lll.num_agpr, 0
	.set _ZL19rocblas_tpsv_kernelILb0ELi512EPKPK19rocblas_complex_numIdEPKPS1_Ev18rocblas_operation_bbiT1_llT2_lll.numbered_sgpr, 66
	.set _ZL19rocblas_tpsv_kernelILb0ELi512EPKPK19rocblas_complex_numIdEPKPS1_Ev18rocblas_operation_bbiT1_llT2_lll.num_named_barrier, 0
	.set _ZL19rocblas_tpsv_kernelILb0ELi512EPKPK19rocblas_complex_numIdEPKPS1_Ev18rocblas_operation_bbiT1_llT2_lll.private_seg_size, 0
	.set _ZL19rocblas_tpsv_kernelILb0ELi512EPKPK19rocblas_complex_numIdEPKPS1_Ev18rocblas_operation_bbiT1_llT2_lll.uses_vcc, 1
	.set _ZL19rocblas_tpsv_kernelILb0ELi512EPKPK19rocblas_complex_numIdEPKPS1_Ev18rocblas_operation_bbiT1_llT2_lll.uses_flat_scratch, 0
	.set _ZL19rocblas_tpsv_kernelILb0ELi512EPKPK19rocblas_complex_numIdEPKPS1_Ev18rocblas_operation_bbiT1_llT2_lll.has_dyn_sized_stack, 0
	.set _ZL19rocblas_tpsv_kernelILb0ELi512EPKPK19rocblas_complex_numIdEPKPS1_Ev18rocblas_operation_bbiT1_llT2_lll.has_recursion, 0
	.set _ZL19rocblas_tpsv_kernelILb0ELi512EPKPK19rocblas_complex_numIdEPKPS1_Ev18rocblas_operation_bbiT1_llT2_lll.has_indirect_call, 0
	.section	.AMDGPU.csdata,"",@progbits
; Kernel info:
; codeLenInByte = 7704
; TotalNumSgprs: 70
; NumVgprs: 42
; ScratchSize: 0
; MemoryBound: 0
; FloatMode: 240
; IeeeMode: 1
; LDSByteSize: 16384 bytes/workgroup (compile time only)
; SGPRBlocks: 8
; VGPRBlocks: 10
; NumSGPRsForWavesPerEU: 70
; NumVGPRsForWavesPerEU: 42
; Occupancy: 5
; WaveLimiterHint : 1
; COMPUTE_PGM_RSRC2:SCRATCH_EN: 0
; COMPUTE_PGM_RSRC2:USER_SGPR: 6
; COMPUTE_PGM_RSRC2:TRAP_HANDLER: 0
; COMPUTE_PGM_RSRC2:TGID_X_EN: 1
; COMPUTE_PGM_RSRC2:TGID_Y_EN: 0
; COMPUTE_PGM_RSRC2:TGID_Z_EN: 0
; COMPUTE_PGM_RSRC2:TIDIG_COMP_CNT: 0
	.section	.AMDGPU.gpr_maximums,"",@progbits
	.set amdgpu.max_num_vgpr, 0
	.set amdgpu.max_num_agpr, 0
	.set amdgpu.max_num_sgpr, 0
	.section	.AMDGPU.csdata,"",@progbits
	.type	__hip_cuid_ff384c22ab02d16,@object ; @__hip_cuid_ff384c22ab02d16
	.section	.bss,"aw",@nobits
	.globl	__hip_cuid_ff384c22ab02d16
__hip_cuid_ff384c22ab02d16:
	.byte	0                               ; 0x0
	.size	__hip_cuid_ff384c22ab02d16, 1

	.ident	"AMD clang version 22.0.0git (https://github.com/RadeonOpenCompute/llvm-project roc-7.2.4 26084 f58b06dce1f9c15707c5f808fd002e18c2accf7e)"
	.section	".note.GNU-stack","",@progbits
	.addrsig
	.addrsig_sym __hip_cuid_ff384c22ab02d16
	.amdgpu_metadata
---
amdhsa.kernels:
  - .args:
      - .offset:         0
        .size:           4
        .value_kind:     by_value
      - .offset:         4
        .size:           1
        .value_kind:     by_value
      - .offset:         5
        .size:           1
        .value_kind:     by_value
      - .offset:         8
        .size:           4
        .value_kind:     by_value
      - .actual_access:  read_only
        .address_space:  global
        .offset:         16
        .size:           8
        .value_kind:     global_buffer
      - .offset:         24
        .size:           8
        .value_kind:     by_value
      - .offset:         32
        .size:           8
        .value_kind:     by_value
      - .address_space:  global
        .offset:         40
        .size:           8
        .value_kind:     global_buffer
      - .offset:         48
        .size:           8
        .value_kind:     by_value
      - .offset:         56
        .size:           8
        .value_kind:     by_value
      - .offset:         64
        .size:           8
        .value_kind:     by_value
    .group_segment_fixed_size: 8192
    .kernarg_segment_align: 8
    .kernarg_segment_size: 72
    .language:       OpenCL C
    .language_version:
      - 2
      - 0
    .max_flat_workgroup_size: 512
    .name:           _ZL19rocblas_tpsv_kernelILb1ELi512EPKfPfEv18rocblas_operation_bbiT1_llT2_lll
    .private_segment_fixed_size: 0
    .sgpr_count:     66
    .sgpr_spill_count: 0
    .symbol:         _ZL19rocblas_tpsv_kernelILb1ELi512EPKfPfEv18rocblas_operation_bbiT1_llT2_lll.kd
    .uniform_work_group_size: 1
    .uses_dynamic_stack: false
    .vgpr_count:     26
    .vgpr_spill_count: 0
    .wavefront_size: 64
  - .args:
      - .offset:         0
        .size:           4
        .value_kind:     by_value
      - .offset:         4
        .size:           1
        .value_kind:     by_value
      - .offset:         5
        .size:           1
        .value_kind:     by_value
      - .offset:         8
        .size:           4
        .value_kind:     by_value
      - .actual_access:  read_only
        .address_space:  global
        .offset:         16
        .size:           8
        .value_kind:     global_buffer
      - .offset:         24
        .size:           8
        .value_kind:     by_value
      - .offset:         32
        .size:           8
        .value_kind:     by_value
      - .address_space:  global
        .offset:         40
        .size:           8
        .value_kind:     global_buffer
      - .offset:         48
        .size:           8
        .value_kind:     by_value
      - .offset:         56
        .size:           8
        .value_kind:     by_value
      - .offset:         64
        .size:           8
        .value_kind:     by_value
    .group_segment_fixed_size: 4096
    .kernarg_segment_align: 8
    .kernarg_segment_size: 72
    .language:       OpenCL C
    .language_version:
      - 2
      - 0
    .max_flat_workgroup_size: 512
    .name:           _ZL19rocblas_tpsv_kernelILb0ELi512EPKfPfEv18rocblas_operation_bbiT1_llT2_lll
    .private_segment_fixed_size: 0
    .sgpr_count:     68
    .sgpr_spill_count: 0
    .symbol:         _ZL19rocblas_tpsv_kernelILb0ELi512EPKfPfEv18rocblas_operation_bbiT1_llT2_lll.kd
    .uniform_work_group_size: 1
    .uses_dynamic_stack: false
    .vgpr_count:     25
    .vgpr_spill_count: 0
    .wavefront_size: 64
  - .args:
      - .offset:         0
        .size:           4
        .value_kind:     by_value
      - .offset:         4
        .size:           1
        .value_kind:     by_value
      - .offset:         5
        .size:           1
        .value_kind:     by_value
      - .offset:         8
        .size:           4
        .value_kind:     by_value
      - .actual_access:  read_only
        .address_space:  global
        .offset:         16
        .size:           8
        .value_kind:     global_buffer
      - .offset:         24
        .size:           8
        .value_kind:     by_value
      - .offset:         32
        .size:           8
        .value_kind:     by_value
      - .address_space:  global
        .offset:         40
        .size:           8
        .value_kind:     global_buffer
      - .offset:         48
        .size:           8
        .value_kind:     by_value
      - .offset:         56
        .size:           8
        .value_kind:     by_value
      - .offset:         64
        .size:           8
        .value_kind:     by_value
    .group_segment_fixed_size: 16384
    .kernarg_segment_align: 8
    .kernarg_segment_size: 72
    .language:       OpenCL C
    .language_version:
      - 2
      - 0
    .max_flat_workgroup_size: 512
    .name:           _ZL19rocblas_tpsv_kernelILb1ELi512EPKdPdEv18rocblas_operation_bbiT1_llT2_lll
    .private_segment_fixed_size: 0
    .sgpr_count:     68
    .sgpr_spill_count: 0
    .symbol:         _ZL19rocblas_tpsv_kernelILb1ELi512EPKdPdEv18rocblas_operation_bbiT1_llT2_lll.kd
    .uniform_work_group_size: 1
    .uses_dynamic_stack: false
    .vgpr_count:     30
    .vgpr_spill_count: 0
    .wavefront_size: 64
  - .args:
      - .offset:         0
        .size:           4
        .value_kind:     by_value
      - .offset:         4
        .size:           1
        .value_kind:     by_value
      - .offset:         5
        .size:           1
        .value_kind:     by_value
      - .offset:         8
        .size:           4
        .value_kind:     by_value
      - .actual_access:  read_only
        .address_space:  global
        .offset:         16
        .size:           8
        .value_kind:     global_buffer
      - .offset:         24
        .size:           8
        .value_kind:     by_value
      - .offset:         32
        .size:           8
        .value_kind:     by_value
      - .address_space:  global
        .offset:         40
        .size:           8
        .value_kind:     global_buffer
      - .offset:         48
        .size:           8
        .value_kind:     by_value
      - .offset:         56
        .size:           8
        .value_kind:     by_value
      - .offset:         64
        .size:           8
        .value_kind:     by_value
    .group_segment_fixed_size: 8192
    .kernarg_segment_align: 8
    .kernarg_segment_size: 72
    .language:       OpenCL C
    .language_version:
      - 2
      - 0
    .max_flat_workgroup_size: 512
    .name:           _ZL19rocblas_tpsv_kernelILb0ELi512EPKdPdEv18rocblas_operation_bbiT1_llT2_lll
    .private_segment_fixed_size: 0
    .sgpr_count:     68
    .sgpr_spill_count: 0
    .symbol:         _ZL19rocblas_tpsv_kernelILb0ELi512EPKdPdEv18rocblas_operation_bbiT1_llT2_lll.kd
    .uniform_work_group_size: 1
    .uses_dynamic_stack: false
    .vgpr_count:     30
    .vgpr_spill_count: 0
    .wavefront_size: 64
  - .args:
      - .offset:         0
        .size:           4
        .value_kind:     by_value
      - .offset:         4
        .size:           1
        .value_kind:     by_value
      - .offset:         5
        .size:           1
        .value_kind:     by_value
      - .offset:         8
        .size:           4
        .value_kind:     by_value
      - .actual_access:  read_only
        .address_space:  global
        .offset:         16
        .size:           8
        .value_kind:     global_buffer
      - .offset:         24
        .size:           8
        .value_kind:     by_value
      - .offset:         32
        .size:           8
        .value_kind:     by_value
      - .address_space:  global
        .offset:         40
        .size:           8
        .value_kind:     global_buffer
      - .offset:         48
        .size:           8
        .value_kind:     by_value
      - .offset:         56
        .size:           8
        .value_kind:     by_value
      - .offset:         64
        .size:           8
        .value_kind:     by_value
    .group_segment_fixed_size: 16384
    .kernarg_segment_align: 8
    .kernarg_segment_size: 72
    .language:       OpenCL C
    .language_version:
      - 2
      - 0
    .max_flat_workgroup_size: 512
    .name:           _ZL19rocblas_tpsv_kernelILb1ELi512EPK19rocblas_complex_numIfEPS1_Ev18rocblas_operation_bbiT1_llT2_lll
    .private_segment_fixed_size: 0
    .sgpr_count:     68
    .sgpr_spill_count: 0
    .symbol:         _ZL19rocblas_tpsv_kernelILb1ELi512EPK19rocblas_complex_numIfEPS1_Ev18rocblas_operation_bbiT1_llT2_lll.kd
    .uniform_work_group_size: 1
    .uses_dynamic_stack: false
    .vgpr_count:     32
    .vgpr_spill_count: 0
    .wavefront_size: 64
  - .args:
      - .offset:         0
        .size:           4
        .value_kind:     by_value
      - .offset:         4
        .size:           1
        .value_kind:     by_value
      - .offset:         5
        .size:           1
        .value_kind:     by_value
      - .offset:         8
        .size:           4
        .value_kind:     by_value
      - .actual_access:  read_only
        .address_space:  global
        .offset:         16
        .size:           8
        .value_kind:     global_buffer
      - .offset:         24
        .size:           8
        .value_kind:     by_value
      - .offset:         32
        .size:           8
        .value_kind:     by_value
      - .address_space:  global
        .offset:         40
        .size:           8
        .value_kind:     global_buffer
      - .offset:         48
        .size:           8
        .value_kind:     by_value
      - .offset:         56
        .size:           8
        .value_kind:     by_value
      - .offset:         64
        .size:           8
        .value_kind:     by_value
    .group_segment_fixed_size: 8192
    .kernarg_segment_align: 8
    .kernarg_segment_size: 72
    .language:       OpenCL C
    .language_version:
      - 2
      - 0
    .max_flat_workgroup_size: 512
    .name:           _ZL19rocblas_tpsv_kernelILb0ELi512EPK19rocblas_complex_numIfEPS1_Ev18rocblas_operation_bbiT1_llT2_lll
    .private_segment_fixed_size: 0
    .sgpr_count:     68
    .sgpr_spill_count: 0
    .symbol:         _ZL19rocblas_tpsv_kernelILb0ELi512EPK19rocblas_complex_numIfEPS1_Ev18rocblas_operation_bbiT1_llT2_lll.kd
    .uniform_work_group_size: 1
    .uses_dynamic_stack: false
    .vgpr_count:     30
    .vgpr_spill_count: 0
    .wavefront_size: 64
  - .args:
      - .offset:         0
        .size:           4
        .value_kind:     by_value
      - .offset:         4
        .size:           1
        .value_kind:     by_value
      - .offset:         5
        .size:           1
        .value_kind:     by_value
      - .offset:         8
        .size:           4
        .value_kind:     by_value
      - .actual_access:  read_only
        .address_space:  global
        .offset:         16
        .size:           8
        .value_kind:     global_buffer
      - .offset:         24
        .size:           8
        .value_kind:     by_value
      - .offset:         32
        .size:           8
        .value_kind:     by_value
      - .address_space:  global
        .offset:         40
        .size:           8
        .value_kind:     global_buffer
      - .offset:         48
        .size:           8
        .value_kind:     by_value
      - .offset:         56
        .size:           8
        .value_kind:     by_value
      - .offset:         64
        .size:           8
        .value_kind:     by_value
    .group_segment_fixed_size: 32768
    .kernarg_segment_align: 8
    .kernarg_segment_size: 72
    .language:       OpenCL C
    .language_version:
      - 2
      - 0
    .max_flat_workgroup_size: 512
    .name:           _ZL19rocblas_tpsv_kernelILb1ELi512EPK19rocblas_complex_numIdEPS1_Ev18rocblas_operation_bbiT1_llT2_lll
    .private_segment_fixed_size: 0
    .sgpr_count:     70
    .sgpr_spill_count: 0
    .symbol:         _ZL19rocblas_tpsv_kernelILb1ELi512EPK19rocblas_complex_numIdEPS1_Ev18rocblas_operation_bbiT1_llT2_lll.kd
    .uniform_work_group_size: 1
    .uses_dynamic_stack: false
    .vgpr_count:     44
    .vgpr_spill_count: 0
    .wavefront_size: 64
  - .args:
      - .offset:         0
        .size:           4
        .value_kind:     by_value
      - .offset:         4
        .size:           1
        .value_kind:     by_value
      - .offset:         5
        .size:           1
        .value_kind:     by_value
      - .offset:         8
        .size:           4
        .value_kind:     by_value
      - .actual_access:  read_only
        .address_space:  global
        .offset:         16
        .size:           8
        .value_kind:     global_buffer
      - .offset:         24
        .size:           8
        .value_kind:     by_value
      - .offset:         32
        .size:           8
        .value_kind:     by_value
      - .address_space:  global
        .offset:         40
        .size:           8
        .value_kind:     global_buffer
      - .offset:         48
        .size:           8
        .value_kind:     by_value
      - .offset:         56
        .size:           8
        .value_kind:     by_value
      - .offset:         64
        .size:           8
        .value_kind:     by_value
    .group_segment_fixed_size: 16384
    .kernarg_segment_align: 8
    .kernarg_segment_size: 72
    .language:       OpenCL C
    .language_version:
      - 2
      - 0
    .max_flat_workgroup_size: 512
    .name:           _ZL19rocblas_tpsv_kernelILb0ELi512EPK19rocblas_complex_numIdEPS1_Ev18rocblas_operation_bbiT1_llT2_lll
    .private_segment_fixed_size: 0
    .sgpr_count:     70
    .sgpr_spill_count: 0
    .symbol:         _ZL19rocblas_tpsv_kernelILb0ELi512EPK19rocblas_complex_numIdEPS1_Ev18rocblas_operation_bbiT1_llT2_lll.kd
    .uniform_work_group_size: 1
    .uses_dynamic_stack: false
    .vgpr_count:     42
    .vgpr_spill_count: 0
    .wavefront_size: 64
  - .args:
      - .offset:         0
        .size:           4
        .value_kind:     by_value
      - .offset:         4
        .size:           1
        .value_kind:     by_value
      - .offset:         5
        .size:           1
        .value_kind:     by_value
      - .offset:         8
        .size:           4
        .value_kind:     by_value
      - .actual_access:  read_only
        .address_space:  global
        .offset:         16
        .size:           8
        .value_kind:     global_buffer
      - .offset:         24
        .size:           8
        .value_kind:     by_value
      - .offset:         32
        .size:           8
        .value_kind:     by_value
      - .actual_access:  read_only
        .address_space:  global
        .offset:         40
        .size:           8
        .value_kind:     global_buffer
      - .offset:         48
        .size:           8
        .value_kind:     by_value
      - .offset:         56
        .size:           8
        .value_kind:     by_value
      - .offset:         64
        .size:           8
        .value_kind:     by_value
    .group_segment_fixed_size: 8192
    .kernarg_segment_align: 8
    .kernarg_segment_size: 72
    .language:       OpenCL C
    .language_version:
      - 2
      - 0
    .max_flat_workgroup_size: 512
    .name:           _ZL19rocblas_tpsv_kernelILb1ELi512EPKPKfPKPfEv18rocblas_operation_bbiT1_llT2_lll
    .private_segment_fixed_size: 0
    .sgpr_count:     66
    .sgpr_spill_count: 0
    .symbol:         _ZL19rocblas_tpsv_kernelILb1ELi512EPKPKfPKPfEv18rocblas_operation_bbiT1_llT2_lll.kd
    .uniform_work_group_size: 1
    .uses_dynamic_stack: false
    .vgpr_count:     26
    .vgpr_spill_count: 0
    .wavefront_size: 64
  - .args:
      - .offset:         0
        .size:           4
        .value_kind:     by_value
      - .offset:         4
        .size:           1
        .value_kind:     by_value
      - .offset:         5
        .size:           1
        .value_kind:     by_value
      - .offset:         8
        .size:           4
        .value_kind:     by_value
      - .actual_access:  read_only
        .address_space:  global
        .offset:         16
        .size:           8
        .value_kind:     global_buffer
      - .offset:         24
        .size:           8
        .value_kind:     by_value
      - .offset:         32
        .size:           8
        .value_kind:     by_value
      - .actual_access:  read_only
        .address_space:  global
        .offset:         40
        .size:           8
        .value_kind:     global_buffer
      - .offset:         48
        .size:           8
        .value_kind:     by_value
      - .offset:         56
        .size:           8
        .value_kind:     by_value
      - .offset:         64
        .size:           8
        .value_kind:     by_value
    .group_segment_fixed_size: 4096
    .kernarg_segment_align: 8
    .kernarg_segment_size: 72
    .language:       OpenCL C
    .language_version:
      - 2
      - 0
    .max_flat_workgroup_size: 512
    .name:           _ZL19rocblas_tpsv_kernelILb0ELi512EPKPKfPKPfEv18rocblas_operation_bbiT1_llT2_lll
    .private_segment_fixed_size: 0
    .sgpr_count:     68
    .sgpr_spill_count: 0
    .symbol:         _ZL19rocblas_tpsv_kernelILb0ELi512EPKPKfPKPfEv18rocblas_operation_bbiT1_llT2_lll.kd
    .uniform_work_group_size: 1
    .uses_dynamic_stack: false
    .vgpr_count:     25
    .vgpr_spill_count: 0
    .wavefront_size: 64
  - .args:
      - .offset:         0
        .size:           4
        .value_kind:     by_value
      - .offset:         4
        .size:           1
        .value_kind:     by_value
      - .offset:         5
        .size:           1
        .value_kind:     by_value
      - .offset:         8
        .size:           4
        .value_kind:     by_value
      - .actual_access:  read_only
        .address_space:  global
        .offset:         16
        .size:           8
        .value_kind:     global_buffer
      - .offset:         24
        .size:           8
        .value_kind:     by_value
      - .offset:         32
        .size:           8
        .value_kind:     by_value
      - .actual_access:  read_only
        .address_space:  global
        .offset:         40
        .size:           8
        .value_kind:     global_buffer
      - .offset:         48
        .size:           8
        .value_kind:     by_value
      - .offset:         56
        .size:           8
        .value_kind:     by_value
      - .offset:         64
        .size:           8
        .value_kind:     by_value
    .group_segment_fixed_size: 16384
    .kernarg_segment_align: 8
    .kernarg_segment_size: 72
    .language:       OpenCL C
    .language_version:
      - 2
      - 0
    .max_flat_workgroup_size: 512
    .name:           _ZL19rocblas_tpsv_kernelILb1ELi512EPKPKdPKPdEv18rocblas_operation_bbiT1_llT2_lll
    .private_segment_fixed_size: 0
    .sgpr_count:     68
    .sgpr_spill_count: 0
    .symbol:         _ZL19rocblas_tpsv_kernelILb1ELi512EPKPKdPKPdEv18rocblas_operation_bbiT1_llT2_lll.kd
    .uniform_work_group_size: 1
    .uses_dynamic_stack: false
    .vgpr_count:     30
    .vgpr_spill_count: 0
    .wavefront_size: 64
  - .args:
      - .offset:         0
        .size:           4
        .value_kind:     by_value
      - .offset:         4
        .size:           1
        .value_kind:     by_value
      - .offset:         5
        .size:           1
        .value_kind:     by_value
      - .offset:         8
        .size:           4
        .value_kind:     by_value
      - .actual_access:  read_only
        .address_space:  global
        .offset:         16
        .size:           8
        .value_kind:     global_buffer
      - .offset:         24
        .size:           8
        .value_kind:     by_value
      - .offset:         32
        .size:           8
        .value_kind:     by_value
      - .actual_access:  read_only
        .address_space:  global
        .offset:         40
        .size:           8
        .value_kind:     global_buffer
      - .offset:         48
        .size:           8
        .value_kind:     by_value
      - .offset:         56
        .size:           8
        .value_kind:     by_value
      - .offset:         64
        .size:           8
        .value_kind:     by_value
    .group_segment_fixed_size: 8192
    .kernarg_segment_align: 8
    .kernarg_segment_size: 72
    .language:       OpenCL C
    .language_version:
      - 2
      - 0
    .max_flat_workgroup_size: 512
    .name:           _ZL19rocblas_tpsv_kernelILb0ELi512EPKPKdPKPdEv18rocblas_operation_bbiT1_llT2_lll
    .private_segment_fixed_size: 0
    .sgpr_count:     68
    .sgpr_spill_count: 0
    .symbol:         _ZL19rocblas_tpsv_kernelILb0ELi512EPKPKdPKPdEv18rocblas_operation_bbiT1_llT2_lll.kd
    .uniform_work_group_size: 1
    .uses_dynamic_stack: false
    .vgpr_count:     30
    .vgpr_spill_count: 0
    .wavefront_size: 64
  - .args:
      - .offset:         0
        .size:           4
        .value_kind:     by_value
      - .offset:         4
        .size:           1
        .value_kind:     by_value
      - .offset:         5
        .size:           1
        .value_kind:     by_value
      - .offset:         8
        .size:           4
        .value_kind:     by_value
      - .actual_access:  read_only
        .address_space:  global
        .offset:         16
        .size:           8
        .value_kind:     global_buffer
      - .offset:         24
        .size:           8
        .value_kind:     by_value
      - .offset:         32
        .size:           8
        .value_kind:     by_value
      - .actual_access:  read_only
        .address_space:  global
        .offset:         40
        .size:           8
        .value_kind:     global_buffer
      - .offset:         48
        .size:           8
        .value_kind:     by_value
      - .offset:         56
        .size:           8
        .value_kind:     by_value
      - .offset:         64
        .size:           8
        .value_kind:     by_value
    .group_segment_fixed_size: 16384
    .kernarg_segment_align: 8
    .kernarg_segment_size: 72
    .language:       OpenCL C
    .language_version:
      - 2
      - 0
    .max_flat_workgroup_size: 512
    .name:           _ZL19rocblas_tpsv_kernelILb1ELi512EPKPK19rocblas_complex_numIfEPKPS1_Ev18rocblas_operation_bbiT1_llT2_lll
    .private_segment_fixed_size: 0
    .sgpr_count:     68
    .sgpr_spill_count: 0
    .symbol:         _ZL19rocblas_tpsv_kernelILb1ELi512EPKPK19rocblas_complex_numIfEPKPS1_Ev18rocblas_operation_bbiT1_llT2_lll.kd
    .uniform_work_group_size: 1
    .uses_dynamic_stack: false
    .vgpr_count:     32
    .vgpr_spill_count: 0
    .wavefront_size: 64
  - .args:
      - .offset:         0
        .size:           4
        .value_kind:     by_value
      - .offset:         4
        .size:           1
        .value_kind:     by_value
      - .offset:         5
        .size:           1
        .value_kind:     by_value
      - .offset:         8
        .size:           4
        .value_kind:     by_value
      - .actual_access:  read_only
        .address_space:  global
        .offset:         16
        .size:           8
        .value_kind:     global_buffer
      - .offset:         24
        .size:           8
        .value_kind:     by_value
      - .offset:         32
        .size:           8
        .value_kind:     by_value
      - .actual_access:  read_only
        .address_space:  global
        .offset:         40
        .size:           8
        .value_kind:     global_buffer
      - .offset:         48
        .size:           8
        .value_kind:     by_value
      - .offset:         56
        .size:           8
        .value_kind:     by_value
      - .offset:         64
        .size:           8
        .value_kind:     by_value
    .group_segment_fixed_size: 8192
    .kernarg_segment_align: 8
    .kernarg_segment_size: 72
    .language:       OpenCL C
    .language_version:
      - 2
      - 0
    .max_flat_workgroup_size: 512
    .name:           _ZL19rocblas_tpsv_kernelILb0ELi512EPKPK19rocblas_complex_numIfEPKPS1_Ev18rocblas_operation_bbiT1_llT2_lll
    .private_segment_fixed_size: 0
    .sgpr_count:     68
    .sgpr_spill_count: 0
    .symbol:         _ZL19rocblas_tpsv_kernelILb0ELi512EPKPK19rocblas_complex_numIfEPKPS1_Ev18rocblas_operation_bbiT1_llT2_lll.kd
    .uniform_work_group_size: 1
    .uses_dynamic_stack: false
    .vgpr_count:     30
    .vgpr_spill_count: 0
    .wavefront_size: 64
  - .args:
      - .offset:         0
        .size:           4
        .value_kind:     by_value
      - .offset:         4
        .size:           1
        .value_kind:     by_value
      - .offset:         5
        .size:           1
        .value_kind:     by_value
      - .offset:         8
        .size:           4
        .value_kind:     by_value
      - .actual_access:  read_only
        .address_space:  global
        .offset:         16
        .size:           8
        .value_kind:     global_buffer
      - .offset:         24
        .size:           8
        .value_kind:     by_value
      - .offset:         32
        .size:           8
        .value_kind:     by_value
      - .actual_access:  read_only
        .address_space:  global
        .offset:         40
        .size:           8
        .value_kind:     global_buffer
      - .offset:         48
        .size:           8
        .value_kind:     by_value
      - .offset:         56
        .size:           8
        .value_kind:     by_value
      - .offset:         64
        .size:           8
        .value_kind:     by_value
    .group_segment_fixed_size: 32768
    .kernarg_segment_align: 8
    .kernarg_segment_size: 72
    .language:       OpenCL C
    .language_version:
      - 2
      - 0
    .max_flat_workgroup_size: 512
    .name:           _ZL19rocblas_tpsv_kernelILb1ELi512EPKPK19rocblas_complex_numIdEPKPS1_Ev18rocblas_operation_bbiT1_llT2_lll
    .private_segment_fixed_size: 0
    .sgpr_count:     70
    .sgpr_spill_count: 0
    .symbol:         _ZL19rocblas_tpsv_kernelILb1ELi512EPKPK19rocblas_complex_numIdEPKPS1_Ev18rocblas_operation_bbiT1_llT2_lll.kd
    .uniform_work_group_size: 1
    .uses_dynamic_stack: false
    .vgpr_count:     44
    .vgpr_spill_count: 0
    .wavefront_size: 64
  - .args:
      - .offset:         0
        .size:           4
        .value_kind:     by_value
      - .offset:         4
        .size:           1
        .value_kind:     by_value
      - .offset:         5
        .size:           1
        .value_kind:     by_value
      - .offset:         8
        .size:           4
        .value_kind:     by_value
      - .actual_access:  read_only
        .address_space:  global
        .offset:         16
        .size:           8
        .value_kind:     global_buffer
      - .offset:         24
        .size:           8
        .value_kind:     by_value
      - .offset:         32
        .size:           8
        .value_kind:     by_value
      - .actual_access:  read_only
        .address_space:  global
        .offset:         40
        .size:           8
        .value_kind:     global_buffer
      - .offset:         48
        .size:           8
        .value_kind:     by_value
      - .offset:         56
        .size:           8
        .value_kind:     by_value
      - .offset:         64
        .size:           8
        .value_kind:     by_value
    .group_segment_fixed_size: 16384
    .kernarg_segment_align: 8
    .kernarg_segment_size: 72
    .language:       OpenCL C
    .language_version:
      - 2
      - 0
    .max_flat_workgroup_size: 512
    .name:           _ZL19rocblas_tpsv_kernelILb0ELi512EPKPK19rocblas_complex_numIdEPKPS1_Ev18rocblas_operation_bbiT1_llT2_lll
    .private_segment_fixed_size: 0
    .sgpr_count:     70
    .sgpr_spill_count: 0
    .symbol:         _ZL19rocblas_tpsv_kernelILb0ELi512EPKPK19rocblas_complex_numIdEPKPS1_Ev18rocblas_operation_bbiT1_llT2_lll.kd
    .uniform_work_group_size: 1
    .uses_dynamic_stack: false
    .vgpr_count:     42
    .vgpr_spill_count: 0
    .wavefront_size: 64
amdhsa.target:   amdgcn-amd-amdhsa--gfx906
amdhsa.version:
  - 1
  - 2
...

	.end_amdgpu_metadata
